;; amdgpu-corpus repo=ROCm/rocFFT kind=compiled arch=gfx1100 opt=O3
	.text
	.amdgcn_target "amdgcn-amd-amdhsa--gfx1100"
	.amdhsa_code_object_version 6
	.protected	bluestein_single_fwd_len560_dim1_dp_op_CI_CI ; -- Begin function bluestein_single_fwd_len560_dim1_dp_op_CI_CI
	.globl	bluestein_single_fwd_len560_dim1_dp_op_CI_CI
	.p2align	8
	.type	bluestein_single_fwd_len560_dim1_dp_op_CI_CI,@function
bluestein_single_fwd_len560_dim1_dp_op_CI_CI: ; @bluestein_single_fwd_len560_dim1_dp_op_CI_CI
; %bb.0:
	s_load_b128 s[16:19], s[0:1], 0x28
	v_mul_u32_u24_e32 v1, 0x493, v0
	s_mov_b32 s2, exec_lo
	v_mov_b32_e32 v161, 0
	s_delay_alu instid0(VALU_DEP_2) | instskip(NEXT) | instid1(VALU_DEP_1)
	v_lshrrev_b32_e32 v1, 16, v1
	v_add_nc_u32_e32 v160, s15, v1
	s_waitcnt lgkmcnt(0)
	s_delay_alu instid0(VALU_DEP_1)
	v_cmpx_gt_u64_e64 s[16:17], v[160:161]
	s_cbranch_execz .LBB0_23
; %bb.1:
	s_clause 0x1
	s_load_b128 s[4:7], s[0:1], 0x18
	s_load_b64 s[12:13], s[0:1], 0x0
	v_mul_lo_u16 v1, v1, 56
	s_delay_alu instid0(VALU_DEP_1)
	v_sub_nc_u16 v100, v0, v1
	s_waitcnt lgkmcnt(0)
	s_load_b128 s[8:11], s[4:5], 0x0
	s_waitcnt lgkmcnt(0)
	v_mad_u64_u32 v[8:9], null, s10, v160, 0
	s_mul_i32 s3, s9, 0x46
	s_mul_hi_u32 s4, s8, 0x46
	s_delay_alu instid0(SALU_CYCLE_1) | instskip(NEXT) | instid1(VALU_DEP_1)
	s_add_i32 s3, s4, s3
	v_mov_b32_e32 v0, v9
	s_delay_alu instid0(VALU_DEP_1) | instskip(NEXT) | instid1(VALU_DEP_1)
	v_mad_u64_u32 v[1:2], null, s11, v160, v[0:1]
	v_dual_mov_b32 v9, v1 :: v_dual_and_b32 v162, 0xffff, v100
	s_delay_alu instid0(VALU_DEP_1) | instskip(SKIP_2) | instid1(VALU_DEP_4)
	v_mad_u64_u32 v[10:11], null, s8, v162, 0
	v_lshlrev_b32_e32 v161, 4, v162
	v_or_b32_e32 v163, 0x150, v162
	v_lshlrev_b64 v[8:9], 4, v[8:9]
	s_delay_alu instid0(VALU_DEP_3) | instskip(SKIP_1) | instid1(VALU_DEP_3)
	v_add_co_u32 v156, s2, s12, v161
	v_mov_b32_e32 v0, v11
	v_add_co_u32 v34, vcc_lo, s18, v8
	s_delay_alu instid0(VALU_DEP_4) | instskip(NEXT) | instid1(VALU_DEP_3)
	v_add_co_ci_u32_e32 v35, vcc_lo, s19, v9, vcc_lo
	v_mad_u64_u32 v[11:12], null, s9, v162, v[0:1]
	v_add_co_ci_u32_e64 v157, null, s13, 0, s2
	s_mul_i32 s2, s8, 0x46
	s_clause 0x1
	global_load_b128 v[0:3], v161, s[12:13]
	global_load_b128 v[4:7], v161, s[12:13] offset:1120
	s_lshl_b64 s[14:15], s[2:3], 4
	v_lshlrev_b64 v[10:11], 4, v[10:11]
	s_delay_alu instid0(VALU_DEP_1) | instskip(NEXT) | instid1(VALU_DEP_2)
	v_add_co_u32 v24, vcc_lo, v34, v10
	v_add_co_ci_u32_e32 v25, vcc_lo, v35, v11, vcc_lo
	s_clause 0x1
	global_load_b128 v[8:11], v161, s[12:13] offset:2240
	global_load_b128 v[12:15], v161, s[12:13] offset:3360
	v_add_co_u32 v26, vcc_lo, v24, s14
	v_add_co_ci_u32_e32 v27, vcc_lo, s15, v25, vcc_lo
	s_delay_alu instid0(VALU_DEP_2) | instskip(NEXT) | instid1(VALU_DEP_2)
	v_add_co_u32 v28, vcc_lo, v26, s14
	v_add_co_ci_u32_e32 v29, vcc_lo, s15, v27, vcc_lo
	v_add_co_u32 v158, vcc_lo, 0x1000, v156
	v_add_co_ci_u32_e32 v159, vcc_lo, 0, v157, vcc_lo
	s_delay_alu instid0(VALU_DEP_4) | instskip(NEXT) | instid1(VALU_DEP_4)
	v_add_co_u32 v30, vcc_lo, v28, s14
	v_add_co_ci_u32_e32 v31, vcc_lo, s15, v29, vcc_lo
	s_clause 0x1
	global_load_b128 v[16:19], v[158:159], off offset:384
	global_load_b128 v[20:23], v[158:159], off offset:1504
	v_add_co_u32 v32, vcc_lo, v30, s14
	v_add_co_ci_u32_e32 v33, vcc_lo, s15, v31, vcc_lo
	s_clause 0x1
	global_load_b128 v[36:39], v[24:25], off
	global_load_b128 v[40:43], v[26:27], off
	v_add_co_u32 v24, vcc_lo, v32, s14
	v_add_co_ci_u32_e32 v25, vcc_lo, s15, v33, vcc_lo
	s_clause 0x1
	global_load_b128 v[44:47], v[28:29], off
	global_load_b128 v[48:51], v[30:31], off
	v_add_co_u32 v26, vcc_lo, v24, s14
	v_add_co_ci_u32_e32 v27, vcc_lo, s15, v25, vcc_lo
	global_load_b128 v[52:55], v[32:33], off
	v_add_co_u32 v32, vcc_lo, v26, s14
	v_add_co_ci_u32_e32 v33, vcc_lo, s15, v27, vcc_lo
	global_load_b128 v[56:59], v[24:25], off
	global_load_b128 v[60:63], v[26:27], off
	s_clause 0x1
	global_load_b128 v[24:27], v[158:159], off offset:2624
	global_load_b128 v[28:31], v[158:159], off offset:3744
	global_load_b128 v[64:67], v[32:33], off
	s_load_b64 s[10:11], s[0:1], 0x38
	s_load_b128 s[4:7], s[6:7], 0x0
	v_cmp_gt_u16_e32 vcc_lo, 14, v100
	s_waitcnt vmcnt(9)
	v_mul_f64 v[68:69], v[38:39], v[2:3]
	v_mul_f64 v[70:71], v[36:37], v[2:3]
	s_waitcnt vmcnt(8)
	v_mul_f64 v[72:73], v[42:43], v[6:7]
	v_mul_f64 v[74:75], v[40:41], v[6:7]
	;; [unrolled: 3-line block ×8, first 2 shown]
	v_fma_f64 v[36:37], v[36:37], v[0:1], v[68:69]
	v_fma_f64 v[38:39], v[38:39], v[0:1], -v[70:71]
	v_fma_f64 v[40:41], v[40:41], v[4:5], v[72:73]
	v_fma_f64 v[42:43], v[42:43], v[4:5], -v[74:75]
	;; [unrolled: 2-line block ×4, first 2 shown]
	ds_store_b128 v161, v[36:39]
	ds_store_b128 v161, v[40:43] offset:1120
	ds_store_b128 v161, v[44:47] offset:2240
	;; [unrolled: 1-line block ×3, first 2 shown]
	v_fma_f64 v[52:53], v[52:53], v[16:17], v[84:85]
	v_fma_f64 v[54:55], v[54:55], v[16:17], -v[86:87]
	v_fma_f64 v[56:57], v[56:57], v[20:21], v[88:89]
	v_fma_f64 v[58:59], v[58:59], v[20:21], -v[90:91]
	;; [unrolled: 2-line block ×4, first 2 shown]
	ds_store_b128 v161, v[52:55] offset:4480
	ds_store_b128 v161, v[56:59] offset:5600
	;; [unrolled: 1-line block ×4, first 2 shown]
	s_and_saveexec_b32 s3, vcc_lo
	s_cbranch_execz .LBB0_3
; %bb.2:
	v_mad_u64_u32 v[56:57], null, 0xffffe4e0, s8, v[32:33]
	s_mul_i32 s2, s9, 0xffffe4e0
	v_mad_u64_u32 v[32:33], null, s8, v163, 0
	s_sub_i32 s2, s2, s8
	s_clause 0x3
	global_load_b128 v[36:39], v[156:157], off offset:896
	global_load_b128 v[40:43], v[156:157], off offset:2016
	;; [unrolled: 1-line block ×4, first 2 shown]
	v_add_nc_u32_e32 v57, s2, v57
	v_add_co_u32 v60, s2, v56, s14
	v_mad_u64_u32 v[52:53], null, s9, v163, v[33:34]
	s_delay_alu instid0(VALU_DEP_3) | instskip(NEXT) | instid1(VALU_DEP_3)
	v_add_co_ci_u32_e64 v61, s2, s15, v57, s2
	v_add_co_u32 v62, s2, v60, s14
	v_lshlrev_b32_e32 v53, 4, v163
	s_delay_alu instid0(VALU_DEP_3) | instskip(NEXT) | instid1(VALU_DEP_3)
	v_add_co_ci_u32_e64 v63, s2, s15, v61, s2
	v_add_co_u32 v64, s2, v62, s14
	v_mov_b32_e32 v33, v52
	s_delay_alu instid0(VALU_DEP_3) | instskip(SKIP_1) | instid1(VALU_DEP_3)
	v_add_co_ci_u32_e64 v65, s2, s15, v63, s2
	v_add_co_u32 v88, s2, 0x2000, v156
	v_lshlrev_b64 v[32:33], 4, v[32:33]
	s_delay_alu instid0(VALU_DEP_3) | instskip(SKIP_1) | instid1(VALU_DEP_2)
	v_mad_u64_u32 v[72:73], null, 0x8c0, s8, v[64:65]
	v_add_co_ci_u32_e64 v89, s2, 0, v157, s2
	v_mov_b32_e32 v66, v73
	global_load_b128 v[52:55], v53, s[12:13]
	global_load_b128 v[56:59], v[56:57], off
	v_mad_u64_u32 v[68:69], null, 0x8c0, s9, v[66:67]
	v_add_co_u32 v69, s2, v34, v32
	s_delay_alu instid0(VALU_DEP_1) | instskip(SKIP_1) | instid1(VALU_DEP_4)
	v_add_co_ci_u32_e64 v70, s2, v35, v33, s2
	v_add_co_u32 v84, s2, v72, s14
	v_mov_b32_e32 v73, v68
	global_load_b128 v[32:35], v[60:61], off
	global_load_b128 v[60:63], v[62:63], off
	;; [unrolled: 1-line block ×4, first 2 shown]
	v_add_co_ci_u32_e64 v85, s2, s15, v73, s2
	v_add_co_u32 v92, s2, v84, s14
	global_load_b128 v[72:75], v[72:73], off
	v_add_co_ci_u32_e64 v93, s2, s15, v85, s2
	s_clause 0x1
	global_load_b128 v[76:79], v[158:159], off offset:2400
	global_load_b128 v[80:83], v[158:159], off offset:3520
	global_load_b128 v[84:87], v[84:85], off
	global_load_b128 v[88:91], v[88:89], off offset:544
	global_load_b128 v[92:95], v[92:93], off
	s_waitcnt vmcnt(10)
	v_mul_f64 v[96:97], v[58:59], v[38:39]
	v_mul_f64 v[38:39], v[56:57], v[38:39]
	s_waitcnt vmcnt(9)
	v_mul_f64 v[98:99], v[34:35], v[42:43]
	v_mul_f64 v[42:43], v[32:33], v[42:43]
	;; [unrolled: 3-line block ×8, first 2 shown]
	v_fma_f64 v[54:55], v[56:57], v[36:37], v[96:97]
	v_fma_f64 v[56:57], v[58:59], v[36:37], -v[38:39]
	v_fma_f64 v[32:33], v[32:33], v[40:41], v[98:99]
	v_fma_f64 v[34:35], v[34:35], v[40:41], -v[42:43]
	;; [unrolled: 2-line block ×8, first 2 shown]
	ds_store_b128 v161, v[54:57] offset:896
	ds_store_b128 v161, v[32:35] offset:2016
	;; [unrolled: 1-line block ×8, first 2 shown]
.LBB0_3:
	s_or_b32 exec_lo, exec_lo, s3
	s_waitcnt lgkmcnt(0)
	s_barrier
	buffer_gl0_inv
	ds_load_b128 v[44:47], v161
	ds_load_b128 v[32:35], v161 offset:1120
	ds_load_b128 v[48:51], v161 offset:2240
	ds_load_b128 v[36:39], v161 offset:3360
	ds_load_b128 v[92:95], v161 offset:4480
	ds_load_b128 v[84:87], v161 offset:5600
	ds_load_b128 v[88:91], v161 offset:6720
	ds_load_b128 v[80:83], v161 offset:7840
                                        ; implicit-def: $vgpr40_vgpr41
                                        ; implicit-def: $vgpr56_vgpr57
                                        ; implicit-def: $vgpr64_vgpr65
                                        ; implicit-def: $vgpr76_vgpr77
                                        ; implicit-def: $vgpr72_vgpr73
                                        ; implicit-def: $vgpr68_vgpr69
                                        ; implicit-def: $vgpr60_vgpr61
                                        ; implicit-def: $vgpr52_vgpr53
	s_and_saveexec_b32 s2, vcc_lo
	s_cbranch_execz .LBB0_5
; %bb.4:
	ds_load_b128 v[40:43], v161 offset:896
	ds_load_b128 v[52:55], v161 offset:2016
	;; [unrolled: 1-line block ×8, first 2 shown]
.LBB0_5:
	s_or_b32 exec_lo, exec_lo, s2
	s_waitcnt lgkmcnt(3)
	v_add_f64 v[92:93], v[44:45], -v[92:93]
	v_add_f64 v[94:95], v[46:47], -v[94:95]
	s_waitcnt lgkmcnt(1)
	v_add_f64 v[88:89], v[48:49], -v[88:89]
	v_add_f64 v[90:91], v[50:51], -v[90:91]
	;; [unrolled: 1-line block ×4, first 2 shown]
	s_waitcnt lgkmcnt(0)
	v_add_f64 v[80:81], v[36:37], -v[80:81]
	v_add_f64 v[82:83], v[38:39], -v[82:83]
	;; [unrolled: 1-line block ×10, first 2 shown]
	s_mov_b32 s2, 0x667f3bcd
	s_mov_b32 s3, 0xbfe6a09e
	;; [unrolled: 1-line block ×4, first 2 shown]
	s_barrier
	buffer_gl0_inv
	v_fma_f64 v[44:45], v[44:45], 2.0, -v[92:93]
	v_fma_f64 v[46:47], v[46:47], 2.0, -v[94:95]
	v_add_f64 v[98:99], v[94:95], v[88:89]
	v_add_f64 v[96:97], v[92:93], -v[90:91]
	v_fma_f64 v[48:49], v[48:49], 2.0, -v[88:89]
	v_fma_f64 v[50:51], v[50:51], 2.0, -v[90:91]
	;; [unrolled: 1-line block ×4, first 2 shown]
	v_add_f64 v[82:83], v[84:85], -v[82:83]
	v_add_f64 v[80:81], v[86:87], v[80:81]
	v_fma_f64 v[40:41], v[40:41], 2.0, -v[68:69]
	v_fma_f64 v[42:43], v[42:43], 2.0, -v[70:71]
	;; [unrolled: 1-line block ×6, first 2 shown]
	v_add_f64 v[100:101], v[68:69], -v[74:75]
	v_add_f64 v[102:103], v[72:73], v[70:71]
	v_fma_f64 v[60:61], v[60:61], 2.0, -v[76:77]
	v_fma_f64 v[62:63], v[62:63], 2.0, -v[78:79]
	v_add_f64 v[78:79], v[64:65], -v[78:79]
	v_add_f64 v[76:77], v[76:77], v[66:67]
	v_fma_f64 v[32:33], v[32:33], 2.0, -v[84:85]
	v_fma_f64 v[34:35], v[34:35], 2.0, -v[86:87]
	;; [unrolled: 1-line block ×4, first 2 shown]
	v_add_f64 v[48:49], v[44:45], -v[48:49]
	v_add_f64 v[50:51], v[46:47], -v[50:51]
	v_fma_f64 v[84:85], v[84:85], 2.0, -v[82:83]
	v_fma_f64 v[86:87], v[86:87], 2.0, -v[80:81]
	v_add_f64 v[108:109], v[40:41], -v[56:57]
	v_add_f64 v[110:111], v[42:43], -v[58:59]
	v_fma_f64 v[56:57], v[82:83], s[8:9], v[96:97]
	v_fma_f64 v[58:59], v[80:81], s[8:9], v[98:99]
	v_fma_f64 v[112:113], v[68:69], 2.0, -v[100:101]
	v_fma_f64 v[114:115], v[70:71], 2.0, -v[102:103]
	v_add_f64 v[60:61], v[52:53], -v[60:61]
	v_add_f64 v[62:63], v[54:55], -v[62:63]
	v_fma_f64 v[64:65], v[64:65], 2.0, -v[78:79]
	v_fma_f64 v[66:67], v[66:67], 2.0, -v[76:77]
	v_add_f64 v[36:37], v[32:33], -v[36:37]
	v_add_f64 v[38:39], v[34:35], -v[38:39]
	v_fma_f64 v[68:69], v[78:79], s[8:9], v[100:101]
	v_fma_f64 v[70:71], v[76:77], s[8:9], v[102:103]
	v_fma_f64 v[116:117], v[44:45], 2.0, -v[48:49]
	v_fma_f64 v[118:119], v[46:47], 2.0, -v[50:51]
	v_fma_f64 v[88:89], v[84:85], s[2:3], v[104:105]
	v_fma_f64 v[90:91], v[86:87], s[2:3], v[106:107]
	v_fma_f64 v[120:121], v[40:41], 2.0, -v[108:109]
	v_fma_f64 v[122:123], v[42:43], 2.0, -v[110:111]
	;; [unrolled: 4-line block ×4, first 2 shown]
	v_add_f64 v[32:33], v[48:49], -v[38:39]
	v_add_f64 v[34:35], v[50:51], v[36:37]
	v_add_f64 v[72:73], v[108:109], -v[62:63]
	v_add_f64 v[74:75], v[110:111], v[60:61]
	v_fma_f64 v[76:77], v[76:77], s[2:3], v[68:69]
	v_fma_f64 v[78:79], v[78:79], s[8:9], v[70:71]
	;; [unrolled: 1-line block ×4, first 2 shown]
	v_add_f64 v[88:89], v[120:121], -v[52:53]
	v_add_f64 v[90:91], v[122:123], -v[54:55]
	v_fma_f64 v[92:93], v[66:67], s[2:3], v[92:93]
	v_fma_f64 v[94:95], v[64:65], s[8:9], v[94:95]
	v_add_f64 v[36:37], v[116:117], -v[44:45]
	v_add_f64 v[38:39], v[118:119], -v[46:47]
	v_fma_f64 v[44:45], v[48:49], 2.0, -v[32:33]
	v_fma_f64 v[46:47], v[50:51], 2.0, -v[34:35]
	;; [unrolled: 1-line block ×8, first 2 shown]
	s_load_b64 s[2:3], s[0:1], 0x8
	v_lshlrev_b16 v96, 3, v162
	s_delay_alu instid0(VALU_DEP_1) | instskip(NEXT) | instid1(VALU_DEP_1)
	v_and_b32_e32 v96, 0xffff, v96
	v_lshlrev_b32_e32 v166, 4, v96
	v_fma_f64 v[60:61], v[104:105], 2.0, -v[40:41]
	v_fma_f64 v[62:63], v[106:107], 2.0, -v[42:43]
	;; [unrolled: 1-line block ×8, first 2 shown]
	v_add_co_u32 v120, null, v162, 56
	ds_store_b128 v166, v[44:47] offset:32
	ds_store_b128 v166, v[48:51] offset:48
	;; [unrolled: 1-line block ×4, first 2 shown]
	ds_store_b128 v166, v[52:55]
	ds_store_b128 v166, v[60:63] offset:16
	ds_store_b128 v166, v[32:35] offset:96
	;; [unrolled: 1-line block ×3, first 2 shown]
	v_lshlrev_b32_e32 v165, 7, v120
	s_and_saveexec_b32 s0, vcc_lo
	s_cbranch_execz .LBB0_7
; %bb.6:
	ds_store_b128 v165, v[68:71]
	ds_store_b128 v165, v[84:87] offset:16
	ds_store_b128 v165, v[64:67] offset:32
	;; [unrolled: 1-line block ×7, first 2 shown]
.LBB0_7:
	s_or_b32 exec_lo, exec_lo, s0
	s_waitcnt lgkmcnt(0)
	s_barrier
	buffer_gl0_inv
	ds_load_b128 v[60:63], v161
	ds_load_b128 v[112:115], v161 offset:1280
	ds_load_b128 v[108:111], v161 offset:2560
	ds_load_b128 v[100:103], v161 offset:3840
	ds_load_b128 v[96:99], v161 offset:5120
	ds_load_b128 v[104:107], v161 offset:6400
	ds_load_b128 v[116:119], v161 offset:7680
	v_cmp_gt_u16_e64 s0, 24, v162
	s_delay_alu instid0(VALU_DEP_1)
	s_and_saveexec_b32 s1, s0
	s_cbranch_execz .LBB0_9
; %bb.8:
	ds_load_b128 v[56:59], v161 offset:896
	ds_load_b128 v[68:71], v161 offset:2176
	;; [unrolled: 1-line block ×7, first 2 shown]
.LBB0_9:
	s_or_b32 exec_lo, exec_lo, s1
	v_and_b32_e32 v164, 7, v162
	s_mov_b32 s8, 0x37e14327
	s_mov_b32 s14, 0x36b3c0b5
	;; [unrolled: 1-line block ×4, first 2 shown]
	v_mul_u32_u24_e32 v32, 6, v164
	s_mov_b32 s9, 0x3fe948f6
	s_mov_b32 s15, 0x3fac98ee
	;; [unrolled: 1-line block ×4, first 2 shown]
	v_lshlrev_b32_e32 v44, 4, v32
	s_mov_b32 s22, 0xb247c609
	s_mov_b32 s21, 0xbfe77f67
	;; [unrolled: 1-line block ×4, first 2 shown]
	s_clause 0x5
	global_load_b128 v[36:39], v44, s[2:3]
	global_load_b128 v[32:35], v44, s[2:3] offset:16
	global_load_b128 v[40:43], v44, s[2:3] offset:80
	;; [unrolled: 1-line block ×5, first 2 shown]
	s_mov_b32 s24, s22
	s_waitcnt vmcnt(0) lgkmcnt(0)
	s_barrier
	buffer_gl0_inv
	v_mul_f64 v[121:122], v[114:115], v[38:39]
	v_mul_f64 v[123:124], v[112:113], v[38:39]
	;; [unrolled: 1-line block ×20, first 2 shown]
	v_fma_f64 v[112:113], v[112:113], v[36:37], -v[121:122]
	v_fma_f64 v[114:115], v[114:115], v[36:37], v[123:124]
	v_fma_f64 v[108:109], v[108:109], v[32:33], -v[125:126]
	v_fma_f64 v[110:111], v[110:111], v[32:33], v[127:128]
	;; [unrolled: 2-line block ×4, first 2 shown]
	v_mul_f64 v[121:122], v[66:67], v[50:51]
	v_mul_f64 v[123:124], v[64:65], v[50:51]
	;; [unrolled: 1-line block ×4, first 2 shown]
	v_fma_f64 v[68:69], v[68:69], v[36:37], -v[137:138]
	v_fma_f64 v[70:71], v[70:71], v[36:37], v[139:140]
	v_fma_f64 v[84:85], v[84:85], v[32:33], -v[141:142]
	v_fma_f64 v[86:87], v[86:87], v[32:33], v[143:144]
	;; [unrolled: 2-line block ×6, first 2 shown]
	v_add_f64 v[129:130], v[112:113], v[116:117]
	v_add_f64 v[131:132], v[114:115], v[118:119]
	;; [unrolled: 1-line block ×4, first 2 shown]
	v_fma_f64 v[64:65], v[64:65], v[48:49], -v[121:122]
	v_fma_f64 v[66:67], v[66:67], v[48:49], v[123:124]
	v_fma_f64 v[80:81], v[80:81], v[44:45], -v[125:126]
	v_fma_f64 v[82:83], v[82:83], v[44:45], v[127:128]
	v_add_f64 v[104:105], v[108:109], -v[104:105]
	v_add_f64 v[106:107], v[110:111], -v[106:107]
	v_add_f64 v[121:122], v[68:69], v[92:93]
	v_add_f64 v[123:124], v[70:71], v[94:95]
	v_add_f64 v[125:126], v[84:85], v[88:89]
	v_add_f64 v[127:128], v[86:87], v[90:91]
	v_add_f64 v[84:85], v[84:85], -v[88:89]
	v_add_f64 v[86:87], v[86:87], -v[90:91]
	v_add_f64 v[108:109], v[100:101], v[96:97]
	v_add_f64 v[110:111], v[102:103], v[98:99]
	v_add_f64 v[96:97], v[96:97], -v[100:101]
	v_add_f64 v[98:99], v[98:99], -v[102:103]
	;; [unrolled: 1-line block ×6, first 2 shown]
	v_add_f64 v[112:113], v[133:134], v[129:130]
	v_add_f64 v[114:115], v[135:136], v[131:132]
	v_add_f64 v[88:89], v[64:65], v[80:81]
	v_add_f64 v[90:91], v[66:67], v[82:83]
	v_add_f64 v[64:65], v[80:81], -v[64:65]
	v_add_f64 v[66:67], v[82:83], -v[66:67]
	v_add_f64 v[80:81], v[125:126], v[121:122]
	v_add_f64 v[82:83], v[127:128], v[123:124]
	v_add_f64 v[92:93], v[129:130], -v[108:109]
	v_add_f64 v[94:95], v[131:132], -v[110:111]
	;; [unrolled: 1-line block ×10, first 2 shown]
	v_add_f64 v[104:105], v[96:97], v[104:105]
	v_add_f64 v[106:107], v[98:99], v[106:107]
	v_add_f64 v[96:97], v[100:101], -v[96:97]
	v_add_f64 v[98:99], v[102:103], -v[98:99]
	v_add_f64 v[112:113], v[108:109], v[112:113]
	v_add_f64 v[114:115], v[110:111], v[114:115]
	v_add_f64 v[108:109], v[108:109], -v[133:134]
	v_add_f64 v[110:111], v[110:111], -v[135:136]
	;; [unrolled: 1-line block ×6, first 2 shown]
	v_add_f64 v[133:134], v[64:65], v[84:85]
	v_add_f64 v[135:136], v[66:67], v[86:87]
	;; [unrolled: 1-line block ×4, first 2 shown]
	v_add_f64 v[88:89], v[121:122], -v[88:89]
	v_add_f64 v[90:91], v[123:124], -v[90:91]
	v_mul_f64 v[92:93], v[92:93], s[8:9]
	v_mul_f64 v[94:95], v[94:95], s[8:9]
	;; [unrolled: 1-line block ×4, first 2 shown]
	v_add_f64 v[121:122], v[125:126], -v[121:122]
	v_add_f64 v[123:124], v[127:128], -v[123:124]
	v_mul_f64 v[125:126], v[137:138], s[18:19]
	v_mul_f64 v[127:128], v[139:140], s[18:19]
	;; [unrolled: 1-line block ×4, first 2 shown]
	v_add_f64 v[100:101], v[104:105], v[100:101]
	v_add_f64 v[102:103], v[106:107], v[102:103]
	;; [unrolled: 1-line block ×4, first 2 shown]
	v_add_f64 v[60:61], v[68:69], -v[64:65]
	v_add_f64 v[62:63], v[70:71], -v[66:67]
	v_mul_f64 v[64:65], v[108:109], s[14:15]
	v_mul_f64 v[66:67], v[110:111], s[14:15]
	;; [unrolled: 1-line block ×6, first 2 shown]
	s_mov_b32 s16, 0xaaaaaaaa
	s_mov_b32 s17, 0xbff2aaaa
	v_add_f64 v[56:57], v[56:57], v[80:81]
	v_add_f64 v[58:59], v[58:59], v[82:83]
	v_mul_f64 v[88:89], v[88:89], s[8:9]
	v_mul_f64 v[90:91], v[90:91], s[8:9]
	s_mov_b32 s8, 0x5476071b
	s_mov_b32 s9, 0x3fe77f67
	;; [unrolled: 1-line block ×3, first 2 shown]
	v_add_f64 v[68:69], v[133:134], v[68:69]
	v_add_f64 v[70:71], v[135:136], v[70:71]
	v_fma_f64 v[104:105], v[108:109], s[14:15], v[92:93]
	v_fma_f64 v[106:107], v[110:111], s[14:15], v[94:95]
	;; [unrolled: 1-line block ×4, first 2 shown]
	v_fma_f64 v[116:117], v[137:138], s[18:19], -v[116:117]
	v_fma_f64 v[118:119], v[139:140], s[18:19], -v[118:119]
	v_fma_f64 v[96:97], v[96:97], s[24:25], -v[125:126]
	v_fma_f64 v[98:99], v[98:99], s[24:25], -v[127:128]
	v_fma_f64 v[92:93], v[129:130], s[20:21], -v[92:93]
	v_fma_f64 v[94:95], v[131:132], s[20:21], -v[94:95]
	v_fma_f64 v[112:113], v[112:113], s[16:17], v[84:85]
	v_fma_f64 v[114:115], v[114:115], s[16:17], v[86:87]
	v_fma_f64 v[64:65], v[129:130], s[8:9], -v[64:65]
	v_fma_f64 v[66:67], v[131:132], s[8:9], -v[66:67]
	;; [unrolled: 1-line block ×4, first 2 shown]
	v_fma_f64 v[129:130], v[60:61], s[22:23], v[145:146]
	v_fma_f64 v[131:132], v[62:63], s[22:23], v[147:148]
	v_fma_f64 v[133:134], v[149:150], s[18:19], -v[145:146]
	v_fma_f64 v[135:136], v[151:152], s[18:19], -v[147:148]
	v_fma_f64 v[137:138], v[80:81], s[16:17], v[56:57]
	v_fma_f64 v[139:140], v[82:83], s[16:17], v[58:59]
	v_fma_f64 v[80:81], v[60:61], s[24:25], -v[169:170]
	v_fma_f64 v[82:83], v[62:63], s[24:25], -v[171:172]
	;; [unrolled: 1-line block ×4, first 2 shown]
	v_fma_f64 v[88:89], v[141:142], s[14:15], v[88:89]
	v_fma_f64 v[90:91], v[143:144], s[14:15], v[90:91]
	s_mov_b32 s8, 0x37c3f68c
	s_mov_b32 s9, 0x3fdc38aa
	v_lshrrev_b32_e32 v167, 3, v120
	v_fma_f64 v[108:109], v[100:101], s[8:9], v[108:109]
	v_fma_f64 v[110:111], v[102:103], s[8:9], v[110:111]
	;; [unrolled: 1-line block ×6, first 2 shown]
	v_add_f64 v[104:105], v[104:105], v[112:113]
	v_add_f64 v[106:107], v[106:107], v[114:115]
	;; [unrolled: 1-line block ×6, first 2 shown]
	v_fma_f64 v[62:63], v[68:69], s[8:9], v[129:130]
	v_fma_f64 v[60:61], v[70:71], s[8:9], v[131:132]
	v_fma_f64 v[129:130], v[68:69], s[8:9], v[133:134]
	v_fma_f64 v[131:132], v[70:71], s[8:9], v[135:136]
	v_add_f64 v[133:134], v[125:126], v[137:138]
	v_add_f64 v[135:136], v[127:128], v[139:140]
	v_fma_f64 v[80:81], v[68:69], s[8:9], v[80:81]
	v_fma_f64 v[64:65], v[70:71], s[8:9], v[82:83]
	v_add_f64 v[66:67], v[121:122], v[137:138]
	v_add_f64 v[82:83], v[123:124], v[139:140]
	;; [unrolled: 1-line block ×5, first 2 shown]
	v_add_f64 v[90:91], v[106:107], -v[108:109]
	v_add_f64 v[92:93], v[102:103], v[143:144]
	v_add_f64 v[94:95], v[145:146], -v[100:101]
	v_add_f64 v[96:97], v[112:113], -v[116:117]
	v_add_f64 v[98:99], v[141:142], v[114:115]
	v_add_f64 v[116:117], v[116:117], v[112:113]
	v_add_f64 v[118:119], v[114:115], -v[141:142]
	v_add_f64 v[121:122], v[143:144], -v[102:103]
	v_add_f64 v[123:124], v[100:101], v[145:146]
	v_add_f64 v[125:126], v[104:105], -v[110:111]
	v_add_f64 v[127:128], v[108:109], v[106:107]
	;; [unrolled: 2-line block ×3, first 2 shown]
	v_add_f64 v[104:105], v[131:132], v[133:134]
	v_add_f64 v[106:107], v[135:136], -v[129:130]
	v_add_f64 v[108:109], v[66:67], -v[64:65]
	v_add_f64 v[110:111], v[80:81], v[82:83]
	v_add_f64 v[112:113], v[68:69], -v[60:61]
	v_add_f64 v[114:115], v[62:63], v[70:71]
	v_lshrrev_b32_e32 v129, 3, v162
	s_delay_alu instid0(VALU_DEP_1) | instskip(NEXT) | instid1(VALU_DEP_1)
	v_mul_u32_u24_e32 v129, 56, v129
	v_or_b32_e32 v129, v129, v164
	s_delay_alu instid0(VALU_DEP_1)
	v_lshlrev_b32_e32 v168, 4, v129
	ds_store_b128 v168, v[84:87]
	ds_store_b128 v168, v[88:91] offset:128
	ds_store_b128 v168, v[92:95] offset:256
	;; [unrolled: 1-line block ×6, first 2 shown]
	s_and_saveexec_b32 s1, s0
	s_cbranch_execz .LBB0_11
; %bb.10:
	v_add_f64 v[62:63], v[70:71], -v[62:63]
	v_add_f64 v[60:61], v[60:61], v[68:69]
	v_add_f64 v[82:83], v[82:83], -v[80:81]
	v_add_f64 v[80:81], v[64:65], v[66:67]
	v_mul_u32_u24_e32 v64, 56, v167
	s_delay_alu instid0(VALU_DEP_1) | instskip(NEXT) | instid1(VALU_DEP_1)
	v_or_b32_e32 v64, v64, v164
	v_lshlrev_b32_e32 v64, 4, v64
	ds_store_b128 v64, v[104:107] offset:512
	ds_store_b128 v64, v[108:111] offset:640
	ds_store_b128 v64, v[56:59]
	ds_store_b128 v64, v[60:63] offset:128
	ds_store_b128 v64, v[80:83] offset:256
	;; [unrolled: 1-line block ×4, first 2 shown]
.LBB0_11:
	s_or_b32 exec_lo, exec_lo, s1
	v_lshlrev_b32_e32 v80, 6, v162
	s_waitcnt lgkmcnt(0)
	s_barrier
	buffer_gl0_inv
	s_mov_b32 s8, 0x134454ff
	s_clause 0x3
	global_load_b128 v[56:59], v80, s[2:3] offset:768
	global_load_b128 v[68:71], v80, s[2:3] offset:784
	;; [unrolled: 1-line block ×4, first 2 shown]
	ds_load_b128 v[81:84], v161 offset:1792
	ds_load_b128 v[85:88], v161 offset:3584
	;; [unrolled: 1-line block ×8, first 2 shown]
	s_mov_b32 s9, 0x3fee6f0e
	s_mov_b32 s15, 0xbfee6f0e
	;; [unrolled: 1-line block ×3, first 2 shown]
	v_add_co_u32 v80, s1, s2, v80
	v_or_b32_e32 v99, 0x1800, v161
	s_waitcnt vmcnt(3) lgkmcnt(7)
	v_mul_f64 v[136:137], v[81:82], v[58:59]
	s_waitcnt vmcnt(2) lgkmcnt(6)
	v_mul_f64 v[132:133], v[87:88], v[70:71]
	s_waitcnt vmcnt(1) lgkmcnt(5)
	v_mul_f64 v[134:135], v[91:92], v[66:67]
	v_mul_f64 v[140:141], v[85:86], v[70:71]
	v_mul_f64 v[142:143], v[89:90], v[66:67]
	;; [unrolled: 1-line block ×3, first 2 shown]
	s_waitcnt vmcnt(0) lgkmcnt(4)
	v_mul_f64 v[138:139], v[95:96], v[62:63]
	v_mul_f64 v[144:145], v[93:94], v[62:63]
	s_waitcnt lgkmcnt(2)
	v_mul_f64 v[148:149], v[122:123], v[70:71]
	s_waitcnt lgkmcnt(1)
	v_mul_f64 v[150:151], v[126:127], v[66:67]
	v_mul_f64 v[152:153], v[120:121], v[70:71]
	;; [unrolled: 1-line block ×4, first 2 shown]
	s_waitcnt lgkmcnt(0)
	v_mul_f64 v[154:155], v[130:131], v[62:63]
	v_mul_f64 v[171:172], v[116:117], v[58:59]
	;; [unrolled: 1-line block ×3, first 2 shown]
	v_fma_f64 v[132:133], v[85:86], v[68:69], -v[132:133]
	v_fma_f64 v[89:90], v[89:90], v[64:65], -v[134:135]
	v_fma_f64 v[134:135], v[83:84], v[56:57], v[136:137]
	v_fma_f64 v[136:137], v[87:88], v[68:69], v[140:141]
	;; [unrolled: 1-line block ×3, first 2 shown]
	v_fma_f64 v[97:98], v[81:82], v[56:57], -v[97:98]
	v_fma_f64 v[93:94], v[93:94], v[60:61], -v[138:139]
	v_fma_f64 v[95:96], v[95:96], v[60:61], v[144:145]
	v_fma_f64 v[120:121], v[120:121], v[68:69], -v[148:149]
	v_fma_f64 v[124:125], v[124:125], v[64:65], -v[150:151]
	v_fma_f64 v[122:123], v[122:123], v[68:69], v[152:153]
	v_fma_f64 v[126:127], v[126:127], v[64:65], v[169:170]
	v_fma_f64 v[116:117], v[116:117], v[56:57], -v[146:147]
	v_fma_f64 v[128:129], v[128:129], v[60:61], -v[154:155]
	v_fma_f64 v[118:119], v[118:119], v[56:57], v[171:172]
	v_fma_f64 v[130:131], v[130:131], v[60:61], v[173:174]
	ds_load_b128 v[81:84], v161
	ds_load_b128 v[85:88], v161 offset:896
	s_waitcnt lgkmcnt(0)
	s_barrier
	buffer_gl0_inv
	v_add_f64 v[138:139], v[132:133], v[89:90]
	v_add_f64 v[173:174], v[83:84], v[134:135]
	v_add_f64 v[189:190], v[134:135], -v[136:137]
	v_add_f64 v[142:143], v[136:137], v[91:92]
	v_add_f64 v[154:155], v[81:82], v[97:98]
	;; [unrolled: 1-line block ×4, first 2 shown]
	v_add_f64 v[169:170], v[134:135], -v[95:96]
	v_add_f64 v[146:147], v[120:121], v[124:125]
	v_add_f64 v[179:180], v[97:98], -v[93:94]
	v_add_f64 v[150:151], v[122:123], v[126:127]
	v_add_f64 v[175:176], v[85:86], v[116:117]
	;; [unrolled: 1-line block ×3, first 2 shown]
	v_add_f64 v[171:172], v[136:137], -v[91:92]
	v_add_f64 v[152:153], v[118:119], v[130:131]
	v_add_f64 v[177:178], v[87:88], v[118:119]
	v_add_f64 v[181:182], v[118:119], -v[130:131]
	v_add_f64 v[183:184], v[116:117], -v[128:129]
	;; [unrolled: 1-line block ×15, first 2 shown]
	v_fma_f64 v[138:139], v[138:139], -0.5, v[81:82]
	v_add_f64 v[136:137], v[173:174], v[136:137]
	v_fma_f64 v[142:143], v[142:143], -0.5, v[83:84]
	v_fma_f64 v[81:82], v[140:141], -0.5, v[81:82]
	v_add_f64 v[140:141], v[132:133], -v[89:90]
	v_fma_f64 v[83:84], v[144:145], -0.5, v[83:84]
	v_fma_f64 v[146:147], v[146:147], -0.5, v[85:86]
	v_add_f64 v[144:145], v[122:123], -v[126:127]
	;; [unrolled: 3-line block ×3, first 2 shown]
	v_fma_f64 v[87:88], v[152:153], -0.5, v[87:88]
	v_add_f64 v[152:153], v[97:98], -v[132:133]
	v_add_f64 v[97:98], v[132:133], -v[97:98]
	v_add_f64 v[132:133], v[154:155], v[132:133]
	v_add_f64 v[120:121], v[175:176], v[120:121]
	;; [unrolled: 1-line block ×5, first 2 shown]
	v_fma_f64 v[154:155], v[169:170], s[8:9], v[138:139]
	v_fma_f64 v[138:139], v[169:170], s[14:15], v[138:139]
	v_add_f64 v[91:92], v[136:137], v[91:92]
	v_fma_f64 v[175:176], v[179:180], s[14:15], v[142:143]
	v_fma_f64 v[142:143], v[179:180], s[8:9], v[142:143]
	;; [unrolled: 1-line block ×14, first 2 shown]
	s_mov_b32 s8, 0x4755a5e
	s_mov_b32 s9, 0x3fe2cf23
	;; [unrolled: 1-line block ×4, first 2 shown]
	v_add_f64 v[89:90], v[132:133], v[89:90]
	v_add_f64 v[152:153], v[152:153], v[185:186]
	;; [unrolled: 1-line block ×9, first 2 shown]
	v_fma_f64 v[120:121], v[171:172], s[8:9], v[154:155]
	v_fma_f64 v[122:123], v[171:172], s[14:15], v[138:139]
	;; [unrolled: 1-line block ×16, first 2 shown]
	s_mov_b32 s8, 0x372fe950
	s_mov_b32 s9, 0x3fd3c6ef
	v_add_f64 v[83:84], v[91:92], v[95:96]
	v_add_f64 v[81:82], v[89:90], v[93:94]
	;; [unrolled: 1-line block ×4, first 2 shown]
	v_fma_f64 v[89:90], v[152:153], s[8:9], v[120:121]
	v_fma_f64 v[93:94], v[152:153], s[8:9], v[122:123]
	;; [unrolled: 1-line block ×16, first 2 shown]
	v_mul_i32_i24_e32 v98, 0xffffffd0, v162
	v_mul_hi_i32_i24_e32 v97, 0xffffffd0, v162
	v_add_co_ci_u32_e64 v140, null, s3, 0, s1
	ds_store_b128 v161, v[81:84]
	ds_store_b128 v161, v[89:92] offset:896
	ds_store_b128 v161, v[116:119] offset:1792
	ds_store_b128 v161, v[120:123] offset:2688
	ds_store_b128 v161, v[93:96] offset:3584
	ds_store_b128 v161, v[85:88] offset:4480
	ds_store_b128 v161, v[124:127] offset:5376
	ds_store_b128 v161, v[132:135] offset:6272
	ds_store_b128 v161, v[136:139] offset:7168
	ds_store_b128 v161, v[128:131] offset:8064
	v_add_co_u32 v80, s1, v80, v98
	s_delay_alu instid0(VALU_DEP_1) | instskip(SKIP_1) | instid1(VALU_DEP_2)
	v_add_co_ci_u32_e64 v98, s1, v140, v97, s1
	s_waitcnt lgkmcnt(0)
	v_add_co_u32 v97, s1, 0x1000, v80
	s_delay_alu instid0(VALU_DEP_1)
	v_add_co_ci_u32_e64 v98, s1, 0, v98, s1
	s_barrier
	buffer_gl0_inv
	s_clause 0x4
	global_load_b128 v[88:91], v[97:98], off offset:256
	global_load_b128 v[84:87], v[97:98], off offset:1152
	global_load_b128 v[80:83], v99, s[2:3]
	global_load_b128 v[92:95], v[97:98], off offset:2944
	global_load_b128 v[96:99], v[97:98], off offset:3840
	ds_load_b128 v[116:119], v161 offset:4480
	ds_load_b128 v[120:123], v161 offset:5376
	;; [unrolled: 1-line block ×6, first 2 shown]
	s_add_u32 s2, s12, 0x2300
	s_addc_u32 s3, s13, 0
	s_waitcnt vmcnt(4) lgkmcnt(5)
	v_mul_f64 v[140:141], v[118:119], v[90:91]
	v_mul_f64 v[142:143], v[116:117], v[90:91]
	s_waitcnt vmcnt(3) lgkmcnt(4)
	v_mul_f64 v[144:145], v[122:123], v[86:87]
	v_mul_f64 v[146:147], v[120:121], v[86:87]
	;; [unrolled: 3-line block ×5, first 2 shown]
	v_fma_f64 v[116:117], v[116:117], v[88:89], -v[140:141]
	v_fma_f64 v[118:119], v[118:119], v[88:89], v[142:143]
	v_fma_f64 v[144:145], v[120:121], v[84:85], -v[144:145]
	v_fma_f64 v[146:147], v[122:123], v[84:85], v[146:147]
	;; [unrolled: 2-line block ×5, first 2 shown]
	ds_load_b128 v[120:123], v161
	ds_load_b128 v[124:127], v161 offset:896
	ds_load_b128 v[128:131], v161 offset:1792
	;; [unrolled: 1-line block ×3, first 2 shown]
	s_waitcnt lgkmcnt(3)
	v_add_f64 v[140:141], v[120:121], -v[116:117]
	v_add_f64 v[142:143], v[122:123], -v[118:119]
	s_waitcnt lgkmcnt(2)
	v_add_f64 v[144:145], v[124:125], -v[144:145]
	v_add_f64 v[146:147], v[126:127], -v[146:147]
	;; [unrolled: 3-line block ×4, first 2 shown]
	v_add_f64 v[116:117], v[136:137], -v[169:170]
	v_add_f64 v[118:119], v[138:139], -v[171:172]
	v_fma_f64 v[169:170], v[120:121], 2.0, -v[140:141]
	v_fma_f64 v[171:172], v[122:123], 2.0, -v[142:143]
	;; [unrolled: 1-line block ×10, first 2 shown]
	v_add_co_u32 v124, s1, s2, v161
	s_delay_alu instid0(VALU_DEP_1)
	v_add_co_ci_u32_e64 v125, null, s3, 0, s1
	ds_store_b128 v161, v[144:147] offset:5376
	ds_store_b128 v161, v[148:151] offset:6272
	ds_store_b128 v161, v[152:155] offset:7168
	ds_store_b128 v161, v[116:119] offset:8064
	ds_store_b128 v161, v[169:172]
	ds_store_b128 v161, v[173:176] offset:896
	ds_store_b128 v161, v[126:129] offset:1792
	;; [unrolled: 1-line block ×5, first 2 shown]
	s_waitcnt lgkmcnt(0)
	s_barrier
	buffer_gl0_inv
	s_clause 0x1
	global_load_b128 v[128:131], v161, s[2:3]
	global_load_b128 v[132:135], v161, s[2:3] offset:1120
	v_add_co_u32 v126, s1, 0x1000, v124
	s_delay_alu instid0(VALU_DEP_1)
	v_add_co_ci_u32_e64 v127, s1, 0, v125, s1
	s_clause 0x5
	global_load_b128 v[136:139], v161, s[2:3] offset:2240
	global_load_b128 v[140:143], v161, s[2:3] offset:3360
	global_load_b128 v[144:147], v[126:127], off offset:384
	global_load_b128 v[148:151], v[126:127], off offset:1504
	;; [unrolled: 1-line block ×4, first 2 shown]
	ds_load_b128 v[173:176], v161
	ds_load_b128 v[177:180], v161 offset:1120
	ds_load_b128 v[181:184], v161 offset:2240
	;; [unrolled: 1-line block ×7, first 2 shown]
	s_waitcnt vmcnt(7) lgkmcnt(7)
	v_mul_f64 v[205:206], v[175:176], v[130:131]
	v_mul_f64 v[130:131], v[173:174], v[130:131]
	s_waitcnt vmcnt(6) lgkmcnt(6)
	v_mul_f64 v[207:208], v[179:180], v[134:135]
	v_mul_f64 v[134:135], v[177:178], v[134:135]
	;; [unrolled: 3-line block ×8, first 2 shown]
	v_fma_f64 v[171:172], v[173:174], v[128:129], -v[205:206]
	v_fma_f64 v[173:174], v[175:176], v[128:129], v[130:131]
	v_fma_f64 v[128:129], v[177:178], v[132:133], -v[207:208]
	v_fma_f64 v[130:131], v[179:180], v[132:133], v[134:135]
	;; [unrolled: 2-line block ×8, first 2 shown]
	ds_store_b128 v161, v[171:174]
	ds_store_b128 v161, v[128:131] offset:1120
	ds_store_b128 v161, v[132:135] offset:2240
	;; [unrolled: 1-line block ×7, first 2 shown]
	s_and_saveexec_b32 s8, vcc_lo
	s_cbranch_execz .LBB0_13
; %bb.12:
	v_add_co_u32 v152, s1, 0x2000, v124
	v_lshl_or_b32 v148, v162, 4, 0x1500
	v_add_co_ci_u32_e64 v153, s1, 0, v125, s1
	s_clause 0x7
	global_load_b128 v[128:131], v[124:125], off offset:896
	global_load_b128 v[132:135], v[124:125], off offset:2016
	;; [unrolled: 1-line block ×6, first 2 shown]
	global_load_b128 v[148:151], v148, s[2:3]
	global_load_b128 v[152:155], v[152:153], off offset:544
	ds_load_b128 v[169:172], v161 offset:896
	ds_load_b128 v[173:176], v161 offset:2016
	ds_load_b128 v[177:180], v161 offset:3136
	ds_load_b128 v[181:184], v161 offset:4256
	ds_load_b128 v[185:188], v161 offset:6496
	ds_load_b128 v[189:192], v161 offset:7616
	ds_load_b128 v[193:196], v161 offset:5376
	ds_load_b128 v[197:200], v161 offset:8736
	s_waitcnt vmcnt(7) lgkmcnt(7)
	v_mul_f64 v[201:202], v[171:172], v[130:131]
	v_mul_f64 v[130:131], v[169:170], v[130:131]
	s_waitcnt vmcnt(6) lgkmcnt(6)
	v_mul_f64 v[203:204], v[175:176], v[134:135]
	v_mul_f64 v[134:135], v[173:174], v[134:135]
	s_waitcnt vmcnt(5) lgkmcnt(5)
	v_mul_f64 v[205:206], v[179:180], v[138:139]
	v_mul_f64 v[138:139], v[177:178], v[138:139]
	s_waitcnt vmcnt(4) lgkmcnt(4)
	v_mul_f64 v[207:208], v[183:184], v[142:143]
	v_mul_f64 v[142:143], v[181:182], v[142:143]
	s_waitcnt vmcnt(1) lgkmcnt(1)
	v_mul_f64 v[213:214], v[195:196], v[150:151]
	v_mul_f64 v[150:151], v[193:194], v[150:151]
	v_mul_f64 v[209:210], v[187:188], v[146:147]
	v_mul_f64 v[146:147], v[185:186], v[146:147]
	;; [unrolled: 1-line block ×4, first 2 shown]
	s_waitcnt vmcnt(0) lgkmcnt(0)
	v_mul_f64 v[217:218], v[199:200], v[154:155]
	v_mul_f64 v[154:155], v[197:198], v[154:155]
	v_fma_f64 v[126:127], v[169:170], v[128:129], -v[201:202]
	v_fma_f64 v[128:129], v[171:172], v[128:129], v[130:131]
	v_fma_f64 v[130:131], v[173:174], v[132:133], -v[203:204]
	v_fma_f64 v[132:133], v[175:176], v[132:133], v[134:135]
	v_fma_f64 v[134:135], v[177:178], v[136:137], -v[205:206]
	v_fma_f64 v[136:137], v[179:180], v[136:137], v[138:139]
	v_fma_f64 v[138:139], v[181:182], v[140:141], -v[207:208]
	v_fma_f64 v[140:141], v[183:184], v[140:141], v[142:143]
	v_fma_f64 v[169:170], v[193:194], v[148:149], -v[213:214]
	v_fma_f64 v[171:172], v[195:196], v[148:149], v[150:151]
	v_fma_f64 v[142:143], v[185:186], v[144:145], -v[209:210]
	v_fma_f64 v[144:145], v[187:188], v[144:145], v[146:147]
	v_fma_f64 v[146:147], v[189:190], v[124:125], -v[211:212]
	v_fma_f64 v[148:149], v[191:192], v[124:125], v[215:216]
	v_fma_f64 v[150:151], v[197:198], v[152:153], -v[217:218]
	v_fma_f64 v[152:153], v[199:200], v[152:153], v[154:155]
	ds_store_b128 v161, v[126:129] offset:896
	ds_store_b128 v161, v[130:133] offset:2016
	;; [unrolled: 1-line block ×8, first 2 shown]
.LBB0_13:
	s_or_b32 exec_lo, exec_lo, s8
	s_waitcnt lgkmcnt(0)
	s_barrier
	buffer_gl0_inv
	ds_load_b128 v[132:135], v161
	ds_load_b128 v[124:127], v161 offset:1120
	ds_load_b128 v[136:139], v161 offset:2240
	ds_load_b128 v[128:131], v161 offset:3360
	ds_load_b128 v[152:155], v161 offset:4480
	ds_load_b128 v[144:147], v161 offset:5600
	ds_load_b128 v[148:151], v161 offset:6720
	ds_load_b128 v[140:143], v161 offset:7840
	s_and_saveexec_b32 s1, vcc_lo
	s_cbranch_execz .LBB0_15
; %bb.14:
	ds_load_b128 v[120:123], v161 offset:896
	ds_load_b128 v[116:119], v161 offset:2016
	;; [unrolled: 1-line block ×8, first 2 shown]
.LBB0_15:
	s_or_b32 exec_lo, exec_lo, s1
	s_waitcnt lgkmcnt(3)
	v_add_f64 v[154:155], v[134:135], -v[154:155]
	s_waitcnt lgkmcnt(1)
	v_add_f64 v[150:151], v[138:139], -v[150:151]
	v_add_f64 v[144:145], v[124:125], -v[144:145]
	;; [unrolled: 1-line block ×3, first 2 shown]
	s_waitcnt lgkmcnt(0)
	v_add_f64 v[140:141], v[128:129], -v[140:141]
	v_add_f64 v[142:143], v[130:131], -v[142:143]
	;; [unrolled: 1-line block ×12, first 2 shown]
	s_mov_b32 s2, 0x667f3bcd
	s_mov_b32 s3, 0xbfe6a09e
	;; [unrolled: 1-line block ×4, first 2 shown]
	s_barrier
	buffer_gl0_inv
	v_fma_f64 v[134:135], v[134:135], 2.0, -v[154:155]
	v_fma_f64 v[138:139], v[138:139], 2.0, -v[150:151]
	;; [unrolled: 1-line block ×6, first 2 shown]
	v_add_f64 v[142:143], v[144:145], v[142:143]
	v_add_f64 v[140:141], v[146:147], -v[140:141]
	v_fma_f64 v[120:121], v[120:121], 2.0, -v[108:109]
	v_fma_f64 v[122:123], v[122:123], 2.0, -v[110:111]
	;; [unrolled: 1-line block ×6, first 2 shown]
	v_add_f64 v[169:170], v[74:75], v[108:109]
	v_add_f64 v[171:172], v[110:111], -v[72:73]
	v_fma_f64 v[72:73], v[104:105], 2.0, -v[76:77]
	v_fma_f64 v[74:75], v[106:107], 2.0, -v[78:79]
	v_add_f64 v[78:79], v[78:79], v[112:113]
	v_add_f64 v[76:77], v[114:115], -v[76:77]
	v_fma_f64 v[132:133], v[132:133], 2.0, -v[152:153]
	v_fma_f64 v[136:137], v[136:137], 2.0, -v[148:149]
	v_add_f64 v[150:151], v[152:153], v[150:151]
	v_add_f64 v[148:149], v[154:155], -v[148:149]
	v_add_f64 v[106:107], v[134:135], -v[138:139]
	v_fma_f64 v[138:139], v[144:145], 2.0, -v[142:143]
	v_fma_f64 v[144:145], v[146:147], 2.0, -v[140:141]
	v_add_f64 v[100:101], v[120:121], -v[100:101]
	v_add_f64 v[102:103], v[122:123], -v[102:103]
	v_fma_f64 v[173:174], v[108:109], 2.0, -v[169:170]
	v_fma_f64 v[175:176], v[110:111], 2.0, -v[171:172]
	;; [unrolled: 4-line block ×3, first 2 shown]
	v_fma_f64 v[112:113], v[78:79], s[8:9], v[169:170]
	v_add_f64 v[104:105], v[132:133], -v[136:137]
	v_add_f64 v[136:137], v[124:125], -v[128:129]
	;; [unrolled: 1-line block ×3, first 2 shown]
	v_fma_f64 v[152:153], v[152:153], 2.0, -v[150:151]
	v_fma_f64 v[154:155], v[154:155], 2.0, -v[148:149]
	v_fma_f64 v[114:115], v[76:77], s[8:9], v[171:172]
	v_fma_f64 v[72:73], v[142:143], s[8:9], v[150:151]
	;; [unrolled: 1-line block ×3, first 2 shown]
	v_fma_f64 v[181:182], v[134:135], 2.0, -v[106:107]
	v_fma_f64 v[187:188], v[120:121], 2.0, -v[100:101]
	;; [unrolled: 1-line block ×5, first 2 shown]
	v_fma_f64 v[191:192], v[146:147], s[2:3], v[173:174]
	v_fma_f64 v[193:194], v[177:178], s[2:3], v[175:176]
	;; [unrolled: 1-line block ×3, first 2 shown]
	v_fma_f64 v[179:180], v[132:133], 2.0, -v[104:105]
	v_fma_f64 v[132:133], v[124:125], 2.0, -v[136:137]
	;; [unrolled: 1-line block ×3, first 2 shown]
	v_fma_f64 v[183:184], v[138:139], s[2:3], v[152:153]
	v_fma_f64 v[185:186], v[144:145], s[2:3], v[154:155]
	v_add_f64 v[128:129], v[104:105], v[128:129]
	v_add_f64 v[130:131], v[106:107], -v[136:137]
	v_add_f64 v[124:125], v[100:101], v[110:111]
	v_add_f64 v[126:127], v[102:103], -v[108:109]
	v_fma_f64 v[122:123], v[78:79], s[2:3], v[114:115]
	v_fma_f64 v[72:73], v[140:141], s[8:9], v[72:73]
	;; [unrolled: 1-line block ×3, first 2 shown]
	v_add_f64 v[112:113], v[187:188], -v[116:117]
	v_add_f64 v[114:115], v[189:190], -v[118:119]
	v_fma_f64 v[116:117], v[177:178], s[8:9], v[191:192]
	v_fma_f64 v[118:119], v[146:147], s[2:3], v[193:194]
	v_fma_f64 v[108:109], v[169:170], 2.0, -v[120:121]
	v_add_f64 v[132:133], v[179:180], -v[132:133]
	v_add_f64 v[134:135], v[181:182], -v[134:135]
	v_fma_f64 v[136:137], v[144:145], s[8:9], v[183:184]
	v_fma_f64 v[138:139], v[138:139], s[2:3], v[185:186]
	v_fma_f64 v[140:141], v[104:105], 2.0, -v[128:129]
	v_fma_f64 v[142:143], v[106:107], 2.0, -v[130:131]
	;; [unrolled: 1-line block ×15, first 2 shown]
	ds_store_b128 v166, v[140:143] offset:32
	ds_store_b128 v166, v[144:147] offset:48
	;; [unrolled: 1-line block ×4, first 2 shown]
	ds_store_b128 v166, v[148:151]
	ds_store_b128 v166, v[152:155] offset:16
	ds_store_b128 v166, v[128:131] offset:96
	;; [unrolled: 1-line block ×3, first 2 shown]
	s_and_saveexec_b32 s1, vcc_lo
	s_cbranch_execz .LBB0_17
; %bb.16:
	ds_store_b128 v165, v[76:79]
	ds_store_b128 v165, v[104:107] offset:16
	ds_store_b128 v165, v[100:103] offset:32
	;; [unrolled: 1-line block ×7, first 2 shown]
.LBB0_17:
	s_or_b32 exec_lo, exec_lo, s1
	s_waitcnt lgkmcnt(0)
	s_barrier
	buffer_gl0_inv
	ds_load_b128 v[120:123], v161
	ds_load_b128 v[140:143], v161 offset:1280
	ds_load_b128 v[136:139], v161 offset:2560
	;; [unrolled: 1-line block ×6, first 2 shown]
	s_and_saveexec_b32 s1, s0
	s_cbranch_execz .LBB0_19
; %bb.18:
	ds_load_b128 v[72:75], v161 offset:896
	ds_load_b128 v[76:79], v161 offset:2176
	;; [unrolled: 1-line block ×7, first 2 shown]
.LBB0_19:
	s_or_b32 exec_lo, exec_lo, s1
	s_waitcnt lgkmcnt(5)
	v_mul_f64 v[148:149], v[38:39], v[142:143]
	v_mul_f64 v[150:151], v[38:39], v[140:141]
	s_waitcnt lgkmcnt(4)
	v_mul_f64 v[152:153], v[34:35], v[138:139]
	v_mul_f64 v[154:155], v[34:35], v[136:137]
	;; [unrolled: 3-line block ×3, first 2 shown]
	v_mul_f64 v[171:172], v[54:55], v[134:135]
	v_mul_f64 v[173:174], v[54:55], v[132:133]
	;; [unrolled: 1-line block ×6, first 2 shown]
	s_mov_b32 s2, 0x37e14327
	s_mov_b32 s16, 0xe976ee23
	;; [unrolled: 1-line block ×19, first 2 shown]
	s_barrier
	buffer_gl0_inv
	v_fma_f64 v[140:141], v[36:37], v[140:141], v[148:149]
	v_fma_f64 v[142:143], v[36:37], v[142:143], -v[150:151]
	v_fma_f64 v[136:137], v[32:33], v[136:137], v[152:153]
	v_fma_f64 v[138:139], v[32:33], v[138:139], -v[154:155]
	;; [unrolled: 2-line block ×6, first 2 shown]
	v_add_f64 v[148:149], v[140:141], v[144:145]
	v_add_f64 v[150:151], v[142:143], v[146:147]
	;; [unrolled: 1-line block ×4, first 2 shown]
	v_add_f64 v[132:133], v[136:137], -v[132:133]
	v_add_f64 v[134:135], v[138:139], -v[134:135]
	v_add_f64 v[136:137], v[128:129], v[124:125]
	v_add_f64 v[138:139], v[130:131], v[126:127]
	v_add_f64 v[124:125], v[124:125], -v[128:129]
	v_add_f64 v[126:127], v[126:127], -v[130:131]
	v_add_f64 v[128:129], v[140:141], -v[144:145]
	v_add_f64 v[130:131], v[142:143], -v[146:147]
	v_add_f64 v[140:141], v[152:153], v[148:149]
	v_add_f64 v[142:143], v[154:155], v[150:151]
	v_add_f64 v[144:145], v[148:149], -v[136:137]
	v_add_f64 v[146:147], v[150:151], -v[138:139]
	;; [unrolled: 1-line block ×6, first 2 shown]
	v_add_f64 v[132:133], v[124:125], v[132:133]
	v_add_f64 v[134:135], v[126:127], v[134:135]
	v_add_f64 v[124:125], v[128:129], -v[124:125]
	v_add_f64 v[126:127], v[130:131], -v[126:127]
	;; [unrolled: 1-line block ×4, first 2 shown]
	v_add_f64 v[140:141], v[136:137], v[140:141]
	v_add_f64 v[142:143], v[138:139], v[142:143]
	v_add_f64 v[136:137], v[136:137], -v[152:153]
	v_add_f64 v[138:139], v[138:139], -v[154:155]
	v_mul_f64 v[144:145], v[144:145], s[2:3]
	v_mul_f64 v[146:147], v[146:147], s[2:3]
	;; [unrolled: 1-line block ×6, first 2 shown]
	v_add_f64 v[128:129], v[132:133], v[128:129]
	v_add_f64 v[130:131], v[134:135], v[130:131]
	;; [unrolled: 1-line block ×4, first 2 shown]
	v_mul_f64 v[152:153], v[136:137], s[22:23]
	v_mul_f64 v[154:155], v[138:139], s[22:23]
	v_fma_f64 v[132:133], v[136:137], s[22:23], v[144:145]
	v_fma_f64 v[134:135], v[138:139], s[22:23], v[146:147]
	;; [unrolled: 1-line block ×4, first 2 shown]
	v_fma_f64 v[165:166], v[171:172], s[8:9], -v[165:166]
	v_fma_f64 v[169:170], v[173:174], s[8:9], -v[169:170]
	;; [unrolled: 1-line block ×6, first 2 shown]
	v_fma_f64 v[140:141], v[140:141], s[14:15], v[120:121]
	v_fma_f64 v[142:143], v[142:143], s[14:15], v[122:123]
	v_fma_f64 v[148:149], v[148:149], s[18:19], -v[152:153]
	v_fma_f64 v[150:151], v[150:151], s[18:19], -v[154:155]
	v_fma_f64 v[152:153], v[128:129], s[28:29], v[136:137]
	v_fma_f64 v[154:155], v[130:131], s[28:29], v[138:139]
	v_fma_f64 v[138:139], v[128:129], s[28:29], v[165:166]
	v_fma_f64 v[136:137], v[130:131], s[28:29], v[169:170]
	v_fma_f64 v[165:166], v[128:129], s[28:29], v[124:125]
	v_fma_f64 v[169:170], v[130:131], s[28:29], v[126:127]
	v_add_f64 v[171:172], v[132:133], v[140:141]
	v_add_f64 v[173:174], v[134:135], v[142:143]
	;; [unrolled: 1-line block ×7, first 2 shown]
	v_add_f64 v[126:127], v[173:174], -v[152:153]
	v_add_f64 v[128:129], v[169:170], v[144:145]
	v_add_f64 v[130:131], v[146:147], -v[165:166]
	v_add_f64 v[132:133], v[140:141], -v[136:137]
	v_add_f64 v[134:135], v[138:139], v[142:143]
	v_add_f64 v[136:137], v[136:137], v[140:141]
	v_add_f64 v[138:139], v[142:143], -v[138:139]
	v_add_f64 v[140:141], v[144:145], -v[169:170]
	v_add_f64 v[142:143], v[165:166], v[146:147]
	v_add_f64 v[144:145], v[171:172], -v[154:155]
	v_add_f64 v[146:147], v[152:153], v[173:174]
	ds_store_b128 v168, v[120:123]
	ds_store_b128 v168, v[124:127] offset:128
	ds_store_b128 v168, v[128:131] offset:256
	;; [unrolled: 1-line block ×6, first 2 shown]
	s_and_saveexec_b32 s1, s0
	s_cbranch_execz .LBB0_21
; %bb.20:
	v_mul_f64 v[120:121], v[42:43], v[116:117]
	v_mul_f64 v[122:123], v[38:39], v[76:77]
	;; [unrolled: 1-line block ×12, first 2 shown]
	v_fma_f64 v[118:119], v[40:41], v[118:119], -v[120:121]
	v_fma_f64 v[78:79], v[36:37], v[78:79], -v[122:123]
	;; [unrolled: 1-line block ×4, first 2 shown]
	v_fma_f64 v[36:37], v[36:37], v[76:77], v[38:39]
	v_fma_f64 v[38:39], v[40:41], v[116:117], v[42:43]
	;; [unrolled: 1-line block ×6, first 2 shown]
	v_fma_f64 v[48:49], v[48:49], v[102:103], -v[50:51]
	v_fma_f64 v[44:45], v[44:45], v[110:111], -v[46:47]
	v_add_f64 v[46:47], v[78:79], v[118:119]
	v_add_f64 v[50:51], v[114:115], v[106:107]
	;; [unrolled: 1-line block ×3, first 2 shown]
	v_add_f64 v[36:37], v[36:37], -v[38:39]
	v_add_f64 v[54:55], v[34:35], v[32:33]
	v_add_f64 v[32:33], v[32:33], -v[34:35]
	v_add_f64 v[76:77], v[40:41], -v[42:43]
	v_add_f64 v[40:41], v[42:43], v[40:41]
	v_add_f64 v[34:35], v[48:49], v[44:45]
	v_add_f64 v[42:43], v[44:45], -v[48:49]
	v_add_f64 v[44:45], v[106:107], -v[114:115]
	v_add_f64 v[48:49], v[78:79], -v[118:119]
	v_add_f64 v[38:39], v[46:47], v[50:51]
	v_add_f64 v[78:79], v[52:53], v[54:55]
	v_add_f64 v[106:107], v[32:33], -v[36:37]
	v_add_f64 v[100:101], v[76:77], -v[32:33]
	;; [unrolled: 1-line block ×8, first 2 shown]
	v_add_f64 v[76:77], v[76:77], v[32:33]
	v_add_f64 v[44:45], v[42:43], v[44:45]
	v_add_f64 v[46:47], v[50:51], -v[46:47]
	v_add_f64 v[42:43], v[48:49], -v[42:43]
	v_add_f64 v[38:39], v[34:35], v[38:39]
	v_add_f64 v[78:79], v[40:41], v[78:79]
	v_add_f64 v[40:41], v[52:53], -v[40:41]
	v_mul_f64 v[100:101], v[100:101], s[16:17]
	v_mul_f64 v[104:105], v[104:105], s[22:23]
	;; [unrolled: 1-line block ×5, first 2 shown]
	v_add_f64 v[52:53], v[54:55], -v[52:53]
	v_add_f64 v[36:37], v[36:37], v[76:77]
	v_add_f64 v[44:45], v[48:49], v[44:45]
	v_add_f64 v[34:35], v[74:75], v[38:39]
	v_mul_f64 v[74:75], v[110:111], s[16:17]
	v_mul_f64 v[110:111], v[112:113], s[8:9]
	v_add_f64 v[32:33], v[72:73], v[78:79]
	v_mul_f64 v[54:55], v[40:41], s[2:3]
	v_fma_f64 v[48:49], v[114:115], s[24:25], v[100:101]
	v_fma_f64 v[40:41], v[40:41], s[2:3], v[104:105]
	;; [unrolled: 1-line block ×3, first 2 shown]
	v_fma_f64 v[50:51], v[46:47], s[20:21], -v[50:51]
	v_fma_f64 v[46:47], v[46:47], s[18:19], -v[102:103]
	;; [unrolled: 1-line block ×4, first 2 shown]
	v_fma_f64 v[38:39], v[38:39], s[14:15], v[34:35]
	v_fma_f64 v[102:103], v[42:43], s[24:25], v[74:75]
	v_fma_f64 v[42:43], v[42:43], s[26:27], -v[110:111]
	v_fma_f64 v[74:75], v[112:113], s[8:9], -v[74:75]
	v_fma_f64 v[78:79], v[78:79], s[14:15], v[32:33]
	v_fma_f64 v[54:55], v[52:53], s[20:21], -v[54:55]
	v_fma_f64 v[52:53], v[52:53], s[18:19], -v[104:105]
	v_fma_f64 v[48:49], v[36:37], s[28:29], v[48:49]
	v_fma_f64 v[76:77], v[36:37], s[28:29], v[76:77]
	;; [unrolled: 1-line block ×3, first 2 shown]
	v_add_f64 v[72:73], v[72:73], v[38:39]
	v_fma_f64 v[102:103], v[44:45], s[28:29], v[102:103]
	v_add_f64 v[100:101], v[50:51], v[38:39]
	v_fma_f64 v[104:105], v[44:45], s[28:29], v[42:43]
	v_add_f64 v[106:107], v[40:41], v[78:79]
	v_add_f64 v[40:41], v[54:55], v[78:79]
	;; [unrolled: 1-line block ×3, first 2 shown]
	v_fma_f64 v[44:45], v[44:45], s[28:29], v[74:75]
	v_add_f64 v[78:79], v[52:53], v[78:79]
	v_add_f64 v[38:39], v[48:49], v[72:73]
	v_add_f64 v[74:75], v[72:73], -v[48:49]
	v_add_f64 v[54:55], v[100:101], -v[76:77]
	v_add_f64 v[42:43], v[76:77], v[100:101]
	v_add_f64 v[72:73], v[102:103], v[106:107]
	;; [unrolled: 1-line block ×3, first 2 shown]
	v_add_f64 v[46:47], v[50:51], -v[36:37]
	v_add_f64 v[50:51], v[36:37], v[50:51]
	v_add_f64 v[48:49], v[78:79], -v[44:45]
	v_add_f64 v[44:45], v[44:45], v[78:79]
	v_add_f64 v[40:41], v[40:41], -v[104:105]
	v_add_f64 v[36:37], v[106:107], -v[102:103]
	v_mul_u32_u24_e32 v76, 56, v167
	s_delay_alu instid0(VALU_DEP_1) | instskip(NEXT) | instid1(VALU_DEP_1)
	v_or_b32_e32 v76, v76, v164
	v_lshlrev_b32_e32 v76, 4, v76
	ds_store_b128 v76, v[32:35]
	ds_store_b128 v76, v[72:75] offset:128
	ds_store_b128 v76, v[52:55] offset:256
	;; [unrolled: 1-line block ×6, first 2 shown]
.LBB0_21:
	s_or_b32 exec_lo, exec_lo, s1
	s_waitcnt lgkmcnt(0)
	s_barrier
	buffer_gl0_inv
	ds_load_b128 v[32:35], v161 offset:1792
	ds_load_b128 v[36:39], v161 offset:3584
	;; [unrolled: 1-line block ×8, first 2 shown]
	s_mov_b32 s0, 0x134454ff
	s_mov_b32 s1, 0xbfee6f0e
	;; [unrolled: 1-line block ×4, first 2 shown]
	s_waitcnt lgkmcnt(7)
	v_mul_f64 v[106:107], v[58:59], v[32:33]
	s_waitcnt lgkmcnt(6)
	v_mul_f64 v[102:103], v[70:71], v[38:39]
	;; [unrolled: 2-line block ×3, first 2 shown]
	v_mul_f64 v[110:111], v[70:71], v[36:37]
	v_mul_f64 v[112:113], v[66:67], v[40:41]
	;; [unrolled: 1-line block ×3, first 2 shown]
	s_waitcnt lgkmcnt(4)
	v_mul_f64 v[108:109], v[62:63], v[46:47]
	v_mul_f64 v[114:115], v[62:63], v[44:45]
	s_waitcnt lgkmcnt(2)
	v_mul_f64 v[118:119], v[70:71], v[54:55]
	s_waitcnt lgkmcnt(1)
	v_mul_f64 v[120:121], v[66:67], v[74:75]
	v_mul_f64 v[70:71], v[70:71], v[52:53]
	v_mul_f64 v[66:67], v[66:67], v[72:73]
	v_mul_f64 v[116:117], v[58:59], v[50:51]
	s_waitcnt lgkmcnt(0)
	v_mul_f64 v[122:123], v[62:63], v[78:79]
	v_mul_f64 v[58:59], v[58:59], v[48:49]
	;; [unrolled: 1-line block ×3, first 2 shown]
	v_fma_f64 v[102:103], v[68:69], v[36:37], v[102:103]
	v_fma_f64 v[40:41], v[64:65], v[40:41], v[104:105]
	v_fma_f64 v[104:105], v[56:57], v[34:35], -v[106:107]
	v_fma_f64 v[106:107], v[68:69], v[38:39], -v[110:111]
	;; [unrolled: 1-line block ×3, first 2 shown]
	v_fma_f64 v[100:101], v[56:57], v[32:33], v[100:101]
	v_fma_f64 v[44:45], v[60:61], v[44:45], v[108:109]
	v_fma_f64 v[46:47], v[60:61], v[46:47], -v[114:115]
	v_fma_f64 v[52:53], v[68:69], v[52:53], v[118:119]
	v_fma_f64 v[72:73], v[64:65], v[72:73], v[120:121]
	v_fma_f64 v[54:55], v[68:69], v[54:55], -v[70:71]
	v_fma_f64 v[64:65], v[64:65], v[74:75], -v[66:67]
	v_fma_f64 v[48:49], v[56:57], v[48:49], v[116:117]
	v_fma_f64 v[68:69], v[60:61], v[76:77], v[122:123]
	v_fma_f64 v[50:51], v[56:57], v[50:51], -v[58:59]
	v_fma_f64 v[56:57], v[60:61], v[78:79], -v[62:63]
	ds_load_b128 v[32:35], v161
	ds_load_b128 v[36:39], v161 offset:896
	s_waitcnt lgkmcnt(0)
	s_barrier
	buffer_gl0_inv
	v_add_f64 v[58:59], v[102:103], v[40:41]
	v_add_f64 v[114:115], v[34:35], v[104:105]
	v_add_f64 v[130:131], v[104:105], -v[106:107]
	v_add_f64 v[62:63], v[106:107], v[42:43]
	v_add_f64 v[108:109], v[32:33], v[100:101]
	;; [unrolled: 1-line block ×4, first 2 shown]
	v_add_f64 v[110:111], v[104:105], -v[46:47]
	v_add_f64 v[70:71], v[52:53], v[72:73]
	v_add_f64 v[120:121], v[100:101], -v[44:45]
	v_add_f64 v[76:77], v[54:55], v[64:65]
	v_add_f64 v[116:117], v[36:37], v[48:49]
	v_add_f64 v[74:75], v[48:49], v[68:69]
	v_add_f64 v[112:113], v[106:107], -v[42:43]
	v_add_f64 v[78:79], v[50:51], v[56:57]
	v_add_f64 v[118:119], v[38:39], v[50:51]
	v_add_f64 v[122:123], v[50:51], -v[56:57]
	v_add_f64 v[124:125], v[48:49], -v[68:69]
	;; [unrolled: 1-line block ×15, first 2 shown]
	v_fma_f64 v[58:59], v[58:59], -0.5, v[32:33]
	v_add_f64 v[106:107], v[114:115], v[106:107]
	v_fma_f64 v[62:63], v[62:63], -0.5, v[34:35]
	v_fma_f64 v[32:33], v[60:61], -0.5, v[32:33]
	v_add_f64 v[60:61], v[102:103], -v[40:41]
	v_fma_f64 v[34:35], v[66:67], -0.5, v[34:35]
	v_fma_f64 v[70:71], v[70:71], -0.5, v[36:37]
	v_add_f64 v[66:67], v[54:55], -v[64:65]
	v_fma_f64 v[76:77], v[76:77], -0.5, v[38:39]
	v_fma_f64 v[36:37], v[74:75], -0.5, v[36:37]
	v_add_f64 v[74:75], v[52:53], -v[72:73]
	v_fma_f64 v[38:39], v[78:79], -0.5, v[38:39]
	v_add_f64 v[78:79], v[100:101], -v[102:103]
	v_add_f64 v[100:101], v[102:103], -v[100:101]
	v_add_f64 v[102:103], v[108:109], v[102:103]
	v_add_f64 v[52:53], v[116:117], v[52:53]
	;; [unrolled: 1-line block ×5, first 2 shown]
	v_fma_f64 v[108:109], v[110:111], s[0:1], v[58:59]
	v_fma_f64 v[58:59], v[110:111], s[2:3], v[58:59]
	v_add_f64 v[42:43], v[106:107], v[42:43]
	v_fma_f64 v[116:117], v[120:121], s[2:3], v[62:63]
	v_fma_f64 v[62:63], v[120:121], s[0:1], v[62:63]
	;; [unrolled: 1-line block ×14, first 2 shown]
	s_mov_b32 s0, 0x4755a5e
	s_mov_b32 s1, 0xbfe2cf23
	;; [unrolled: 1-line block ×4, first 2 shown]
	v_add_f64 v[40:41], v[102:103], v[40:41]
	v_add_f64 v[78:79], v[78:79], v[126:127]
	;; [unrolled: 1-line block ×9, first 2 shown]
	v_fma_f64 v[52:53], v[112:113], s[0:1], v[108:109]
	v_fma_f64 v[54:55], v[112:113], s[2:3], v[58:59]
	;; [unrolled: 1-line block ×16, first 2 shown]
	s_mov_b32 s0, 0x372fe950
	s_mov_b32 s1, 0x3fd3c6ef
	v_add_f64 v[34:35], v[42:43], v[46:47]
	s_mov_b32 s2, 0x1d41d41d
	v_add_f64 v[32:33], v[40:41], v[44:45]
	;; [unrolled: 2-line block ×3, first 2 shown]
	v_add_f64 v[38:39], v[50:51], v[56:57]
	v_fma_f64 v[40:41], v[78:79], s[0:1], v[52:53]
	v_fma_f64 v[44:45], v[78:79], s[0:1], v[54:55]
	;; [unrolled: 1-line block ×16, first 2 shown]
	s_mul_i32 s0, s5, 0x46
	s_mul_hi_u32 s1, s4, 0x46
	ds_store_b128 v161, v[32:35]
	ds_store_b128 v161, v[40:43] offset:896
	ds_store_b128 v161, v[48:51] offset:1792
	;; [unrolled: 1-line block ×9, first 2 shown]
	s_waitcnt lgkmcnt(0)
	s_barrier
	buffer_gl0_inv
	ds_load_b128 v[32:35], v161 offset:4480
	ds_load_b128 v[36:39], v161 offset:5376
	;; [unrolled: 1-line block ×6, first 2 shown]
	s_waitcnt lgkmcnt(5)
	v_mul_f64 v[56:57], v[90:91], v[34:35]
	v_mul_f64 v[58:59], v[90:91], v[32:33]
	s_waitcnt lgkmcnt(4)
	v_mul_f64 v[60:61], v[86:87], v[38:39]
	v_mul_f64 v[62:63], v[86:87], v[36:37]
	;; [unrolled: 3-line block ×5, first 2 shown]
	v_mad_u64_u32 v[82:83], null, s4, v162, 0
	v_fma_f64 v[56:57], v[88:89], v[32:33], v[56:57]
	v_fma_f64 v[58:59], v[88:89], v[34:35], -v[58:59]
	v_fma_f64 v[60:61], v[84:85], v[36:37], v[60:61]
	v_fma_f64 v[62:63], v[84:85], v[38:39], -v[62:63]
	;; [unrolled: 2-line block ×5, first 2 shown]
	ds_load_b128 v[32:35], v161
	ds_load_b128 v[36:39], v161 offset:896
	ds_load_b128 v[40:43], v161 offset:1792
	;; [unrolled: 1-line block ×3, first 2 shown]
	v_mad_u64_u32 v[80:81], null, s6, v160, 0
	s_mul_i32 s6, s4, 0x46
	s_delay_alu instid0(VALU_DEP_1) | instskip(SKIP_1) | instid1(SALU_CYCLE_1)
	v_mad_u64_u32 v[84:85], null, s7, v160, v[81:82]
	s_add_i32 s7, s1, s0
	s_lshl_b64 s[6:7], s[6:7], 4
	s_delay_alu instid0(VALU_DEP_1) | instskip(SKIP_1) | instid1(VALU_DEP_2)
	v_mad_u64_u32 v[85:86], null, s5, v162, v[83:84]
	v_mov_b32_e32 v81, v84
	v_mov_b32_e32 v83, v85
	s_waitcnt lgkmcnt(3)
	v_add_f64 v[48:49], v[32:33], -v[56:57]
	v_add_f64 v[50:51], v[34:35], -v[58:59]
	s_waitcnt lgkmcnt(2)
	v_add_f64 v[56:57], v[36:37], -v[60:61]
	v_add_f64 v[58:59], v[38:39], -v[62:63]
	;; [unrolled: 3-line block ×4, first 2 shown]
	v_add_f64 v[68:69], v[52:53], -v[72:73]
	v_add_f64 v[70:71], v[54:55], -v[74:75]
	v_fma_f64 v[32:33], v[32:33], 2.0, -v[48:49]
	v_fma_f64 v[34:35], v[34:35], 2.0, -v[50:51]
	;; [unrolled: 1-line block ×10, first 2 shown]
	ds_store_b128 v161, v[56:59] offset:5376
	ds_store_b128 v161, v[60:63] offset:6272
	;; [unrolled: 1-line block ×4, first 2 shown]
	ds_store_b128 v161, v[32:35]
	ds_store_b128 v161, v[36:39] offset:896
	ds_store_b128 v161, v[40:43] offset:1792
	;; [unrolled: 1-line block ×5, first 2 shown]
	s_waitcnt lgkmcnt(0)
	s_barrier
	buffer_gl0_inv
	ds_load_b128 v[32:35], v161
	ds_load_b128 v[36:39], v161 offset:1120
	ds_load_b128 v[40:43], v161 offset:2240
	;; [unrolled: 1-line block ×7, first 2 shown]
	s_waitcnt lgkmcnt(7)
	v_mul_f64 v[64:65], v[2:3], v[34:35]
	v_mul_f64 v[2:3], v[2:3], v[32:33]
	s_waitcnt lgkmcnt(6)
	v_mul_f64 v[66:67], v[6:7], v[38:39]
	v_mul_f64 v[6:7], v[6:7], v[36:37]
	;; [unrolled: 3-line block ×8, first 2 shown]
	v_fma_f64 v[32:33], v[0:1], v[32:33], v[64:65]
	v_fma_f64 v[0:1], v[0:1], v[34:35], -v[2:3]
	v_fma_f64 v[34:35], v[4:5], v[36:37], v[66:67]
	v_fma_f64 v[36:37], v[4:5], v[38:39], -v[6:7]
	;; [unrolled: 2-line block ×8, first 2 shown]
	v_lshlrev_b64 v[2:3], 4, v[80:81]
	v_lshlrev_b64 v[4:5], 4, v[82:83]
	s_delay_alu instid0(VALU_DEP_2) | instskip(NEXT) | instid1(VALU_DEP_1)
	v_add_co_u32 v2, s0, s10, v2
	v_add_co_ci_u32_e64 v3, s0, s11, v3, s0
	s_delay_alu instid0(VALU_DEP_2) | instskip(NEXT) | instid1(VALU_DEP_1)
	v_add_co_u32 v62, s0, v2, v4
	v_add_co_ci_u32_e64 v63, s0, v3, v5, s0
	v_mul_f64 v[4:5], v[32:33], s[2:3]
	v_mul_f64 v[6:7], v[0:1], s[2:3]
	;; [unrolled: 1-line block ×4, first 2 shown]
	v_add_co_u32 v36, s0, v62, s6
	v_mul_f64 v[12:13], v[38:39], s[2:3]
	v_mul_f64 v[14:15], v[40:41], s[2:3]
	;; [unrolled: 1-line block ×4, first 2 shown]
	v_add_co_ci_u32_e64 v37, s0, s7, v63, s0
	v_mul_f64 v[20:21], v[46:47], s[2:3]
	v_mul_f64 v[22:23], v[48:49], s[2:3]
	;; [unrolled: 1-line block ×6, first 2 shown]
	v_add_co_u32 v38, s0, v36, s6
	v_mul_f64 v[32:33], v[58:59], s[2:3]
	v_mul_f64 v[34:35], v[60:61], s[2:3]
	v_add_co_ci_u32_e64 v39, s0, s7, v37, s0
	s_delay_alu instid0(VALU_DEP_4) | instskip(NEXT) | instid1(VALU_DEP_1)
	v_add_co_u32 v40, s0, v38, s6
	v_add_co_ci_u32_e64 v41, s0, s7, v39, s0
	s_delay_alu instid0(VALU_DEP_2) | instskip(NEXT) | instid1(VALU_DEP_1)
	v_add_co_u32 v42, s0, v40, s6
	v_add_co_ci_u32_e64 v43, s0, s7, v41, s0
	s_delay_alu instid0(VALU_DEP_2) | instskip(NEXT) | instid1(VALU_DEP_1)
	v_add_co_u32 v44, s0, v42, s6
	v_add_co_ci_u32_e64 v45, s0, s7, v43, s0
	s_delay_alu instid0(VALU_DEP_2) | instskip(NEXT) | instid1(VALU_DEP_1)
	v_add_co_u32 v46, s0, v44, s6
	v_add_co_ci_u32_e64 v47, s0, s7, v45, s0
	s_delay_alu instid0(VALU_DEP_2) | instskip(NEXT) | instid1(VALU_DEP_1)
	v_add_co_u32 v0, s0, v46, s6
	v_add_co_ci_u32_e64 v1, s0, s7, v47, s0
	s_clause 0x4
	global_store_b128 v[62:63], v[4:7], off
	global_store_b128 v[36:37], v[8:11], off
	;; [unrolled: 1-line block ×8, first 2 shown]
	s_and_b32 exec_lo, exec_lo, vcc_lo
	s_cbranch_execz .LBB0_23
; %bb.22:
	s_clause 0x3
	global_load_b128 v[4:7], v[156:157], off offset:896
	global_load_b128 v[8:11], v[156:157], off offset:2016
	;; [unrolled: 1-line block ×4, first 2 shown]
	ds_load_b128 v[20:23], v161 offset:896
	ds_load_b128 v[24:27], v161 offset:2016
	;; [unrolled: 1-line block ×4, first 2 shown]
	s_mul_i32 s0, s5, 0xffffe4e0
	s_delay_alu instid0(SALU_CYCLE_1)
	s_sub_i32 s0, s0, s4
	s_waitcnt vmcnt(3) lgkmcnt(3)
	v_mul_f64 v[36:37], v[22:23], v[6:7]
	v_mul_f64 v[6:7], v[20:21], v[6:7]
	s_waitcnt vmcnt(2) lgkmcnt(2)
	v_mul_f64 v[38:39], v[26:27], v[10:11]
	v_mul_f64 v[10:11], v[24:25], v[10:11]
	;; [unrolled: 3-line block ×4, first 2 shown]
	v_fma_f64 v[20:21], v[20:21], v[4:5], v[36:37]
	v_fma_f64 v[6:7], v[4:5], v[22:23], -v[6:7]
	v_fma_f64 v[22:23], v[24:25], v[8:9], v[38:39]
	v_fma_f64 v[10:11], v[8:9], v[26:27], -v[10:11]
	;; [unrolled: 2-line block ×4, first 2 shown]
	v_mul_f64 v[4:5], v[20:21], s[2:3]
	v_mul_f64 v[6:7], v[6:7], s[2:3]
	;; [unrolled: 1-line block ×8, first 2 shown]
	v_mad_u64_u32 v[20:21], null, 0xffffe4e0, s4, v[0:1]
	v_lshlrev_b32_e32 v26, 4, v163
	s_delay_alu instid0(VALU_DEP_2) | instskip(NEXT) | instid1(VALU_DEP_3)
	v_add_nc_u32_e32 v21, s0, v21
	v_add_co_u32 v0, vcc_lo, v20, s6
	s_delay_alu instid0(VALU_DEP_2) | instskip(NEXT) | instid1(VALU_DEP_2)
	v_add_co_ci_u32_e32 v1, vcc_lo, s7, v21, vcc_lo
	v_add_co_u32 v22, vcc_lo, v0, s6
	s_delay_alu instid0(VALU_DEP_2) | instskip(NEXT) | instid1(VALU_DEP_2)
	v_add_co_ci_u32_e32 v23, vcc_lo, s7, v1, vcc_lo
	v_add_co_u32 v24, vcc_lo, v22, s6
	s_delay_alu instid0(VALU_DEP_2)
	v_add_co_ci_u32_e32 v25, vcc_lo, s7, v23, vcc_lo
	global_store_b128 v[20:21], v[4:7], off
	global_store_b128 v[0:1], v[8:11], off
	;; [unrolled: 1-line block ×4, first 2 shown]
	s_clause 0x1
	global_load_b128 v[4:7], v26, s[12:13]
	global_load_b128 v[8:11], v[158:159], off offset:2400
	ds_load_b128 v[12:15], v161 offset:5376
	ds_load_b128 v[16:19], v161 offset:6496
	s_waitcnt vmcnt(1) lgkmcnt(1)
	v_mul_f64 v[0:1], v[14:15], v[6:7]
	v_mul_f64 v[6:7], v[12:13], v[6:7]
	s_waitcnt vmcnt(0) lgkmcnt(0)
	v_mul_f64 v[20:21], v[18:19], v[10:11]
	v_mul_f64 v[10:11], v[16:17], v[10:11]
	s_delay_alu instid0(VALU_DEP_4) | instskip(NEXT) | instid1(VALU_DEP_4)
	v_fma_f64 v[0:1], v[12:13], v[4:5], v[0:1]
	v_fma_f64 v[6:7], v[4:5], v[14:15], -v[6:7]
	s_delay_alu instid0(VALU_DEP_4) | instskip(NEXT) | instid1(VALU_DEP_4)
	v_fma_f64 v[12:13], v[16:17], v[8:9], v[20:21]
	v_fma_f64 v[10:11], v[8:9], v[18:19], -v[10:11]
	v_mad_u64_u32 v[14:15], null, s4, v163, 0
	v_mad_u64_u32 v[16:17], null, 0x8c0, s4, v[24:25]
	v_mul_f64 v[4:5], v[0:1], s[2:3]
	s_delay_alu instid0(VALU_DEP_3) | instskip(SKIP_3) | instid1(VALU_DEP_4)
	v_mov_b32_e32 v0, v15
	v_mul_f64 v[6:7], v[6:7], s[2:3]
	v_mul_f64 v[8:9], v[12:13], s[2:3]
	;; [unrolled: 1-line block ×3, first 2 shown]
	v_mad_u64_u32 v[12:13], null, s5, v163, v[0:1]
	s_delay_alu instid0(VALU_DEP_1) | instskip(NEXT) | instid1(VALU_DEP_1)
	v_dual_mov_b32 v0, v17 :: v_dual_mov_b32 v15, v12
	v_lshlrev_b64 v[12:13], 4, v[14:15]
	s_delay_alu instid0(VALU_DEP_2) | instskip(NEXT) | instid1(VALU_DEP_2)
	v_mad_u64_u32 v[14:15], null, 0x8c0, s5, v[0:1]
	v_add_co_u32 v0, vcc_lo, v2, v12
	s_delay_alu instid0(VALU_DEP_3) | instskip(NEXT) | instid1(VALU_DEP_3)
	v_add_co_ci_u32_e32 v1, vcc_lo, v3, v13, vcc_lo
	v_mov_b32_e32 v17, v14
	global_store_b128 v[0:1], v[4:7], off
	global_store_b128 v[16:17], v[8:11], off
	global_load_b128 v[0:3], v[158:159], off offset:3520
	ds_load_b128 v[4:7], v161 offset:7616
	ds_load_b128 v[8:11], v161 offset:8736
	s_waitcnt vmcnt(0) lgkmcnt(1)
	v_mul_f64 v[12:13], v[6:7], v[2:3]
	v_mul_f64 v[2:3], v[4:5], v[2:3]
	s_delay_alu instid0(VALU_DEP_2) | instskip(NEXT) | instid1(VALU_DEP_2)
	v_fma_f64 v[4:5], v[4:5], v[0:1], v[12:13]
	v_fma_f64 v[2:3], v[0:1], v[6:7], -v[2:3]
	s_delay_alu instid0(VALU_DEP_2) | instskip(NEXT) | instid1(VALU_DEP_2)
	v_mul_f64 v[0:1], v[4:5], s[2:3]
	v_mul_f64 v[2:3], v[2:3], s[2:3]
	v_add_co_u32 v4, vcc_lo, v16, s6
	v_add_co_ci_u32_e32 v5, vcc_lo, s7, v17, vcc_lo
	v_add_co_u32 v6, vcc_lo, 0x2000, v156
	v_add_co_ci_u32_e32 v7, vcc_lo, 0, v157, vcc_lo
	global_store_b128 v[4:5], v[0:3], off
	global_load_b128 v[0:3], v[6:7], off offset:544
	v_add_co_u32 v4, vcc_lo, v4, s6
	v_add_co_ci_u32_e32 v5, vcc_lo, s7, v5, vcc_lo
	s_waitcnt vmcnt(0) lgkmcnt(0)
	v_mul_f64 v[6:7], v[10:11], v[2:3]
	v_mul_f64 v[2:3], v[8:9], v[2:3]
	s_delay_alu instid0(VALU_DEP_2) | instskip(NEXT) | instid1(VALU_DEP_2)
	v_fma_f64 v[6:7], v[8:9], v[0:1], v[6:7]
	v_fma_f64 v[2:3], v[0:1], v[10:11], -v[2:3]
	s_delay_alu instid0(VALU_DEP_2) | instskip(NEXT) | instid1(VALU_DEP_2)
	v_mul_f64 v[0:1], v[6:7], s[2:3]
	v_mul_f64 v[2:3], v[2:3], s[2:3]
	global_store_b128 v[4:5], v[0:3], off
.LBB0_23:
	s_nop 0
	s_sendmsg sendmsg(MSG_DEALLOC_VGPRS)
	s_endpgm
	.section	.rodata,"a",@progbits
	.p2align	6, 0x0
	.amdhsa_kernel bluestein_single_fwd_len560_dim1_dp_op_CI_CI
		.amdhsa_group_segment_fixed_size 8960
		.amdhsa_private_segment_fixed_size 0
		.amdhsa_kernarg_size 104
		.amdhsa_user_sgpr_count 15
		.amdhsa_user_sgpr_dispatch_ptr 0
		.amdhsa_user_sgpr_queue_ptr 0
		.amdhsa_user_sgpr_kernarg_segment_ptr 1
		.amdhsa_user_sgpr_dispatch_id 0
		.amdhsa_user_sgpr_private_segment_size 0
		.amdhsa_wavefront_size32 1
		.amdhsa_uses_dynamic_stack 0
		.amdhsa_enable_private_segment 0
		.amdhsa_system_sgpr_workgroup_id_x 1
		.amdhsa_system_sgpr_workgroup_id_y 0
		.amdhsa_system_sgpr_workgroup_id_z 0
		.amdhsa_system_sgpr_workgroup_info 0
		.amdhsa_system_vgpr_workitem_id 0
		.amdhsa_next_free_vgpr 223
		.amdhsa_next_free_sgpr 30
		.amdhsa_reserve_vcc 1
		.amdhsa_float_round_mode_32 0
		.amdhsa_float_round_mode_16_64 0
		.amdhsa_float_denorm_mode_32 3
		.amdhsa_float_denorm_mode_16_64 3
		.amdhsa_dx10_clamp 1
		.amdhsa_ieee_mode 1
		.amdhsa_fp16_overflow 0
		.amdhsa_workgroup_processor_mode 1
		.amdhsa_memory_ordered 1
		.amdhsa_forward_progress 0
		.amdhsa_shared_vgpr_count 0
		.amdhsa_exception_fp_ieee_invalid_op 0
		.amdhsa_exception_fp_denorm_src 0
		.amdhsa_exception_fp_ieee_div_zero 0
		.amdhsa_exception_fp_ieee_overflow 0
		.amdhsa_exception_fp_ieee_underflow 0
		.amdhsa_exception_fp_ieee_inexact 0
		.amdhsa_exception_int_div_zero 0
	.end_amdhsa_kernel
	.text
.Lfunc_end0:
	.size	bluestein_single_fwd_len560_dim1_dp_op_CI_CI, .Lfunc_end0-bluestein_single_fwd_len560_dim1_dp_op_CI_CI
                                        ; -- End function
	.section	.AMDGPU.csdata,"",@progbits
; Kernel info:
; codeLenInByte = 15308
; NumSgprs: 32
; NumVgprs: 223
; ScratchSize: 0
; MemoryBound: 0
; FloatMode: 240
; IeeeMode: 1
; LDSByteSize: 8960 bytes/workgroup (compile time only)
; SGPRBlocks: 3
; VGPRBlocks: 27
; NumSGPRsForWavesPerEU: 32
; NumVGPRsForWavesPerEU: 223
; Occupancy: 6
; WaveLimiterHint : 1
; COMPUTE_PGM_RSRC2:SCRATCH_EN: 0
; COMPUTE_PGM_RSRC2:USER_SGPR: 15
; COMPUTE_PGM_RSRC2:TRAP_HANDLER: 0
; COMPUTE_PGM_RSRC2:TGID_X_EN: 1
; COMPUTE_PGM_RSRC2:TGID_Y_EN: 0
; COMPUTE_PGM_RSRC2:TGID_Z_EN: 0
; COMPUTE_PGM_RSRC2:TIDIG_COMP_CNT: 0
	.text
	.p2alignl 7, 3214868480
	.fill 96, 4, 3214868480
	.type	__hip_cuid_f7bf5eb68b83c629,@object ; @__hip_cuid_f7bf5eb68b83c629
	.section	.bss,"aw",@nobits
	.globl	__hip_cuid_f7bf5eb68b83c629
__hip_cuid_f7bf5eb68b83c629:
	.byte	0                               ; 0x0
	.size	__hip_cuid_f7bf5eb68b83c629, 1

	.ident	"AMD clang version 19.0.0git (https://github.com/RadeonOpenCompute/llvm-project roc-6.4.0 25133 c7fe45cf4b819c5991fe208aaa96edf142730f1d)"
	.section	".note.GNU-stack","",@progbits
	.addrsig
	.addrsig_sym __hip_cuid_f7bf5eb68b83c629
	.amdgpu_metadata
---
amdhsa.kernels:
  - .args:
      - .actual_access:  read_only
        .address_space:  global
        .offset:         0
        .size:           8
        .value_kind:     global_buffer
      - .actual_access:  read_only
        .address_space:  global
        .offset:         8
        .size:           8
        .value_kind:     global_buffer
      - .actual_access:  read_only
        .address_space:  global
        .offset:         16
        .size:           8
        .value_kind:     global_buffer
      - .actual_access:  read_only
        .address_space:  global
        .offset:         24
        .size:           8
        .value_kind:     global_buffer
      - .actual_access:  read_only
        .address_space:  global
        .offset:         32
        .size:           8
        .value_kind:     global_buffer
      - .offset:         40
        .size:           8
        .value_kind:     by_value
      - .address_space:  global
        .offset:         48
        .size:           8
        .value_kind:     global_buffer
      - .address_space:  global
        .offset:         56
        .size:           8
        .value_kind:     global_buffer
      - .address_space:  global
        .offset:         64
        .size:           8
        .value_kind:     global_buffer
      - .address_space:  global
        .offset:         72
        .size:           8
        .value_kind:     global_buffer
      - .offset:         80
        .size:           4
        .value_kind:     by_value
      - .address_space:  global
        .offset:         88
        .size:           8
        .value_kind:     global_buffer
      - .address_space:  global
        .offset:         96
        .size:           8
        .value_kind:     global_buffer
    .group_segment_fixed_size: 8960
    .kernarg_segment_align: 8
    .kernarg_segment_size: 104
    .language:       OpenCL C
    .language_version:
      - 2
      - 0
    .max_flat_workgroup_size: 56
    .name:           bluestein_single_fwd_len560_dim1_dp_op_CI_CI
    .private_segment_fixed_size: 0
    .sgpr_count:     32
    .sgpr_spill_count: 0
    .symbol:         bluestein_single_fwd_len560_dim1_dp_op_CI_CI.kd
    .uniform_work_group_size: 1
    .uses_dynamic_stack: false
    .vgpr_count:     223
    .vgpr_spill_count: 0
    .wavefront_size: 32
    .workgroup_processor_mode: 1
amdhsa.target:   amdgcn-amd-amdhsa--gfx1100
amdhsa.version:
  - 1
  - 2
...

	.end_amdgpu_metadata
